;; amdgpu-corpus repo=zjin-lcf/HeCBench kind=compiled arch=gfx906 opt=O3
	.amdgcn_target "amdgcn-amd-amdhsa--gfx906"
	.amdhsa_code_object_version 6
	.section	.text._Z4scanIcLi128EEvlPT_PKS0_,"axG",@progbits,_Z4scanIcLi128EEvlPT_PKS0_,comdat
	.protected	_Z4scanIcLi128EEvlPT_PKS0_ ; -- Begin function _Z4scanIcLi128EEvlPT_PKS0_
	.globl	_Z4scanIcLi128EEvlPT_PKS0_
	.p2align	8
	.type	_Z4scanIcLi128EEvlPT_PKS0_,@function
_Z4scanIcLi128EEvlPT_PKS0_:             ; @_Z4scanIcLi128EEvlPT_PKS0_
; %bb.0:
	s_load_dwordx2 s[24:25], s[4:5], 0x0
	s_mov_b32 s7, 0
	v_mov_b32_e32 v1, s6
	v_mov_b32_e32 v2, s7
	s_waitcnt lgkmcnt(0)
	v_cmp_le_i64_e32 vcc, s[24:25], v[1:2]
	s_cbranch_vccnz .LBB0_35
; %bb.1:
	v_lshlrev_b32_e32 v1, 1, v0
	v_or_b32_e32 v11, 1, v1
	v_add_u32_e32 v12, 2, v1
	s_load_dwordx4 s[20:23], s[4:5], 0x8
	s_load_dword s26, s[4:5], 0x18
	v_lshlrev_b32_e32 v5, 1, v11
	v_lshlrev_b32_e32 v6, 1, v12
	v_add_u32_e32 v3, -1, v5
	v_add_u32_e32 v4, -1, v6
	v_add_u32_e32 v5, v3, v5
	v_add_u32_e32 v6, v4, v6
	s_mov_b32 s27, s7
	v_lshl_add_u32 v7, v11, 2, v5
	v_lshl_add_u32 v8, v12, 2, v6
	;; [unrolled: 1-line block ×4, first 2 shown]
	s_lshl_b64 s[18:19], s[6:7], 7
	s_waitcnt lgkmcnt(0)
	s_lshl_b64 s[28:29], s[26:27], 7
	v_cmp_eq_u32_e64 s[0:1], 0, v0
	v_cmp_gt_u32_e64 s[2:3], 64, v0
	v_cmp_lt_u32_e64 s[4:5], 63, v0
	v_cmp_gt_u32_e64 s[8:9], 32, v0
	v_cmp_gt_u32_e64 s[10:11], 16, v0
	;; [unrolled: 1-line block ×5, first 2 shown]
	v_lshl_add_u32 v0, v11, 4, v9
	v_lshl_add_u32 v11, v12, 4, v10
	v_mov_b32_e32 v13, s19
	v_add_co_u32_e32 v12, vcc, s18, v1
	s_add_u32 s20, s20, 1
	v_mov_b32_e32 v2, 0
	v_addc_co_u32_e32 v13, vcc, 0, v13, vcc
	s_addc_u32 s21, s21, 0
	v_mov_b32_e32 v14, s23
	s_branch .LBB0_3
.LBB0_2:                                ;   in Loop: Header=BB0_3 Depth=1
	s_or_b64 exec, exec, s[18:19]
	v_mov_b32_e32 v18, s21
	v_add_co_u32_e32 v17, vcc, s20, v12
	v_lshlrev_b16_e32 v16, 8, v16
	v_addc_co_u32_e32 v18, vcc, v18, v13, vcc
	v_or_b32_sdwa v15, v15, v16 dst_sel:DWORD dst_unused:UNUSED_PAD src0_sel:BYTE_0 src1_sel:DWORD
	global_store_short v[17:18], v15, off offset:-1
	s_add_u32 s6, s6, s26
	v_mov_b32_e32 v15, s24
	s_addc_u32 s7, s7, 0
	v_mov_b32_e32 v16, s25
	v_cmp_ge_i64_e32 vcc, s[6:7], v[15:16]
	v_mov_b32_e32 v17, s29
	v_add_co_u32_e64 v12, s[18:19], s28, v12
	v_addc_co_u32_e64 v13, s[18:19], v13, v17, s[18:19]
	s_cbranch_vccnz .LBB0_35
.LBB0_3:                                ; =>This Inner Loop Header: Depth=1
	v_add_co_u32_e32 v15, vcc, s22, v12
	v_addc_co_u32_e32 v16, vcc, v14, v13, vcc
	global_load_ushort v15, v[15:16], off
	s_waitcnt vmcnt(0)
	ds_write_b16 v1, v15
	s_waitcnt lgkmcnt(0)
	s_barrier
	s_and_saveexec_b64 s[18:19], s[2:3]
	s_cbranch_execz .LBB0_5
; %bb.4:                                ;   in Loop: Header=BB0_3 Depth=1
	ds_read_u16 v15, v1
	s_waitcnt lgkmcnt(0)
	v_add_u16_sdwa v15, v15, v15 dst_sel:DWORD dst_unused:UNUSED_PAD src0_sel:BYTE_1 src1_sel:DWORD
	ds_write_b8 v1, v15 offset:1
.LBB0_5:                                ;   in Loop: Header=BB0_3 Depth=1
	s_or_b64 exec, exec, s[18:19]
	s_waitcnt lgkmcnt(0)
	s_barrier
	s_and_saveexec_b64 s[18:19], s[8:9]
	s_cbranch_execz .LBB0_7
; %bb.6:                                ;   in Loop: Header=BB0_3 Depth=1
	ds_read_u8 v15, v3
	ds_read_u8 v16, v4
	s_waitcnt lgkmcnt(0)
	v_add_u16_e32 v15, v16, v15
	ds_write_b8 v4, v15
.LBB0_7:                                ;   in Loop: Header=BB0_3 Depth=1
	s_or_b64 exec, exec, s[18:19]
	s_waitcnt lgkmcnt(0)
	s_barrier
	s_and_saveexec_b64 s[18:19], s[10:11]
	s_cbranch_execz .LBB0_9
; %bb.8:                                ;   in Loop: Header=BB0_3 Depth=1
	ds_read_u8 v15, v5
	ds_read_u8 v16, v6
	s_waitcnt lgkmcnt(0)
	v_add_u16_e32 v15, v16, v15
	ds_write_b8 v6, v15
.LBB0_9:                                ;   in Loop: Header=BB0_3 Depth=1
	s_or_b64 exec, exec, s[18:19]
	s_waitcnt lgkmcnt(0)
	s_barrier
	s_and_saveexec_b64 s[18:19], s[12:13]
	s_cbranch_execz .LBB0_11
; %bb.10:                               ;   in Loop: Header=BB0_3 Depth=1
	ds_read_u8 v15, v7
	ds_read_u8 v16, v8
	s_waitcnt lgkmcnt(0)
	v_add_u16_e32 v15, v16, v15
	ds_write_b8 v8, v15
.LBB0_11:                               ;   in Loop: Header=BB0_3 Depth=1
	s_or_b64 exec, exec, s[18:19]
	s_waitcnt lgkmcnt(0)
	s_barrier
	s_and_saveexec_b64 s[18:19], s[14:15]
	s_cbranch_execz .LBB0_13
; %bb.12:                               ;   in Loop: Header=BB0_3 Depth=1
	ds_read_u8 v15, v9
	ds_read_u8 v16, v10
	s_waitcnt lgkmcnt(0)
	v_add_u16_e32 v15, v16, v15
	ds_write_b8 v10, v15
.LBB0_13:                               ;   in Loop: Header=BB0_3 Depth=1
	s_or_b64 exec, exec, s[18:19]
	s_waitcnt lgkmcnt(0)
	s_barrier
	s_and_saveexec_b64 s[18:19], s[16:17]
	s_cbranch_execz .LBB0_15
; %bb.14:                               ;   in Loop: Header=BB0_3 Depth=1
	ds_read_u8 v15, v0
	ds_read_u8 v16, v11
	s_waitcnt lgkmcnt(0)
	v_add_u16_e32 v15, v16, v15
	ds_write_b8 v11, v15
.LBB0_15:                               ;   in Loop: Header=BB0_3 Depth=1
	s_or_b64 exec, exec, s[18:19]
	s_waitcnt lgkmcnt(0)
	s_barrier
	s_and_saveexec_b64 s[18:19], s[0:1]
	s_cbranch_execz .LBB0_17
; %bb.16:                               ;   in Loop: Header=BB0_3 Depth=1
	ds_read_u8 v15, v2 offset:63
	ds_read_u8 v16, v2 offset:127
	s_waitcnt lgkmcnt(0)
	v_add_u32_e32 v15, v16, v15
	ds_write_b8 v2, v15 offset:127
.LBB0_17:                               ;   in Loop: Header=BB0_3 Depth=1
	s_or_b64 exec, exec, s[18:19]
	s_and_saveexec_b64 s[18:19], s[0:1]
; %bb.18:                               ;   in Loop: Header=BB0_3 Depth=1
	ds_write_b8 v2, v2 offset:127
; %bb.19:                               ;   in Loop: Header=BB0_3 Depth=1
	s_or_b64 exec, exec, s[18:19]
	s_waitcnt lgkmcnt(0)
	s_barrier
	s_and_saveexec_b64 s[18:19], s[0:1]
	s_cbranch_execz .LBB0_21
; %bb.20:                               ;   in Loop: Header=BB0_3 Depth=1
	ds_read_u8 v15, v2 offset:127
	ds_read_u8 v16, v2 offset:63
	s_waitcnt lgkmcnt(1)
	ds_write_b8 v2, v15 offset:63
	s_waitcnt lgkmcnt(1)
	v_add_u32_e32 v15, v15, v16
	ds_write_b8 v2, v15 offset:127
.LBB0_21:                               ;   in Loop: Header=BB0_3 Depth=1
	s_or_b64 exec, exec, s[18:19]
	s_waitcnt lgkmcnt(0)
	s_barrier
	s_and_saveexec_b64 s[18:19], s[16:17]
	s_cbranch_execz .LBB0_23
; %bb.22:                               ;   in Loop: Header=BB0_3 Depth=1
	ds_read_u8 v15, v11
	ds_read_u8 v16, v0
	s_waitcnt lgkmcnt(1)
	ds_write_b8 v0, v15
	s_waitcnt lgkmcnt(1)
	v_add_u16_e32 v15, v15, v16
	ds_write_b8 v11, v15
.LBB0_23:                               ;   in Loop: Header=BB0_3 Depth=1
	s_or_b64 exec, exec, s[18:19]
	s_waitcnt lgkmcnt(0)
	s_barrier
	s_and_saveexec_b64 s[18:19], s[14:15]
	s_cbranch_execz .LBB0_25
; %bb.24:                               ;   in Loop: Header=BB0_3 Depth=1
	ds_read_u8 v15, v10
	ds_read_u8 v16, v9
	s_waitcnt lgkmcnt(1)
	ds_write_b8 v9, v15
	s_waitcnt lgkmcnt(1)
	v_add_u16_e32 v15, v15, v16
	ds_write_b8 v10, v15
.LBB0_25:                               ;   in Loop: Header=BB0_3 Depth=1
	;; [unrolled: 14-line block ×5, first 2 shown]
	s_or_b64 exec, exec, s[18:19]
	s_waitcnt lgkmcnt(0)
	s_barrier
                                        ; implicit-def: $vgpr15
                                        ; implicit-def: $vgpr16
	s_and_saveexec_b64 s[18:19], s[4:5]
	s_xor_b64 s[18:19], exec, s[18:19]
	s_cbranch_execz .LBB0_33
; %bb.32:                               ;   in Loop: Header=BB0_3 Depth=1
	ds_read_u16 v15, v1
	s_waitcnt lgkmcnt(0)
	v_lshrrev_b16_e32 v16, 8, v15
.LBB0_33:                               ;   in Loop: Header=BB0_3 Depth=1
	s_andn2_saveexec_b64 s[18:19], s[18:19]
	s_cbranch_execz .LBB0_2
; %bb.34:                               ;   in Loop: Header=BB0_3 Depth=1
	ds_read_u16 v16, v1
	s_waitcnt lgkmcnt(0)
	v_lshrrev_b16_e32 v15, 8, v16
	v_add_u16_e32 v16, v15, v16
	v_lshlrev_b16_e32 v17, 8, v16
	v_or_b32_e32 v17, v15, v17
	ds_write_b16 v1, v17
	s_branch .LBB0_2
.LBB0_35:
	s_endpgm
	.section	.rodata,"a",@progbits
	.p2align	6, 0x0
	.amdhsa_kernel _Z4scanIcLi128EEvlPT_PKS0_
		.amdhsa_group_segment_fixed_size 128
		.amdhsa_private_segment_fixed_size 0
		.amdhsa_kernarg_size 280
		.amdhsa_user_sgpr_count 6
		.amdhsa_user_sgpr_private_segment_buffer 1
		.amdhsa_user_sgpr_dispatch_ptr 0
		.amdhsa_user_sgpr_queue_ptr 0
		.amdhsa_user_sgpr_kernarg_segment_ptr 1
		.amdhsa_user_sgpr_dispatch_id 0
		.amdhsa_user_sgpr_flat_scratch_init 0
		.amdhsa_user_sgpr_private_segment_size 0
		.amdhsa_uses_dynamic_stack 0
		.amdhsa_system_sgpr_private_segment_wavefront_offset 0
		.amdhsa_system_sgpr_workgroup_id_x 1
		.amdhsa_system_sgpr_workgroup_id_y 0
		.amdhsa_system_sgpr_workgroup_id_z 0
		.amdhsa_system_sgpr_workgroup_info 0
		.amdhsa_system_vgpr_workitem_id 0
		.amdhsa_next_free_vgpr 19
		.amdhsa_next_free_sgpr 30
		.amdhsa_reserve_vcc 1
		.amdhsa_reserve_flat_scratch 0
		.amdhsa_float_round_mode_32 0
		.amdhsa_float_round_mode_16_64 0
		.amdhsa_float_denorm_mode_32 3
		.amdhsa_float_denorm_mode_16_64 3
		.amdhsa_dx10_clamp 1
		.amdhsa_ieee_mode 1
		.amdhsa_fp16_overflow 0
		.amdhsa_exception_fp_ieee_invalid_op 0
		.amdhsa_exception_fp_denorm_src 0
		.amdhsa_exception_fp_ieee_div_zero 0
		.amdhsa_exception_fp_ieee_overflow 0
		.amdhsa_exception_fp_ieee_underflow 0
		.amdhsa_exception_fp_ieee_inexact 0
		.amdhsa_exception_int_div_zero 0
	.end_amdhsa_kernel
	.section	.text._Z4scanIcLi128EEvlPT_PKS0_,"axG",@progbits,_Z4scanIcLi128EEvlPT_PKS0_,comdat
.Lfunc_end0:
	.size	_Z4scanIcLi128EEvlPT_PKS0_, .Lfunc_end0-_Z4scanIcLi128EEvlPT_PKS0_
                                        ; -- End function
	.set _Z4scanIcLi128EEvlPT_PKS0_.num_vgpr, 19
	.set _Z4scanIcLi128EEvlPT_PKS0_.num_agpr, 0
	.set _Z4scanIcLi128EEvlPT_PKS0_.numbered_sgpr, 30
	.set _Z4scanIcLi128EEvlPT_PKS0_.num_named_barrier, 0
	.set _Z4scanIcLi128EEvlPT_PKS0_.private_seg_size, 0
	.set _Z4scanIcLi128EEvlPT_PKS0_.uses_vcc, 1
	.set _Z4scanIcLi128EEvlPT_PKS0_.uses_flat_scratch, 0
	.set _Z4scanIcLi128EEvlPT_PKS0_.has_dyn_sized_stack, 0
	.set _Z4scanIcLi128EEvlPT_PKS0_.has_recursion, 0
	.set _Z4scanIcLi128EEvlPT_PKS0_.has_indirect_call, 0
	.section	.AMDGPU.csdata,"",@progbits
; Kernel info:
; codeLenInByte = 1200
; TotalNumSgprs: 34
; NumVgprs: 19
; ScratchSize: 0
; MemoryBound: 0
; FloatMode: 240
; IeeeMode: 1
; LDSByteSize: 128 bytes/workgroup (compile time only)
; SGPRBlocks: 4
; VGPRBlocks: 4
; NumSGPRsForWavesPerEU: 34
; NumVGPRsForWavesPerEU: 19
; Occupancy: 10
; WaveLimiterHint : 0
; COMPUTE_PGM_RSRC2:SCRATCH_EN: 0
; COMPUTE_PGM_RSRC2:USER_SGPR: 6
; COMPUTE_PGM_RSRC2:TRAP_HANDLER: 0
; COMPUTE_PGM_RSRC2:TGID_X_EN: 1
; COMPUTE_PGM_RSRC2:TGID_Y_EN: 0
; COMPUTE_PGM_RSRC2:TGID_Z_EN: 0
; COMPUTE_PGM_RSRC2:TIDIG_COMP_CNT: 0
	.section	.text._Z9scan_bcaoIcLi128EEvlPT_PKS0_,"axG",@progbits,_Z9scan_bcaoIcLi128EEvlPT_PKS0_,comdat
	.protected	_Z9scan_bcaoIcLi128EEvlPT_PKS0_ ; -- Begin function _Z9scan_bcaoIcLi128EEvlPT_PKS0_
	.globl	_Z9scan_bcaoIcLi128EEvlPT_PKS0_
	.p2align	8
	.type	_Z9scan_bcaoIcLi128EEvlPT_PKS0_,@function
_Z9scan_bcaoIcLi128EEvlPT_PKS0_:        ; @_Z9scan_bcaoIcLi128EEvlPT_PKS0_
; %bb.0:
	s_load_dwordx2 s[20:21], s[4:5], 0x0
	s_mov_b32 s7, 0
	v_mov_b32_e32 v1, s6
	v_mov_b32_e32 v2, s7
	s_waitcnt lgkmcnt(0)
	v_cmp_le_i64_e32 vcc, s[20:21], v[1:2]
	s_cbranch_vccnz .LBB1_33
; %bb.1:
	v_lshlrev_b32_e32 v2, 1, v0
	v_or_b32_e32 v9, 1, v2
	v_add_u32_e32 v10, 2, v2
	v_lshlrev_b32_e32 v4, 1, v9
	v_lshlrev_b32_e32 v6, 1, v10
	s_load_dwordx4 s[16:19], s[4:5], 0x8
	s_load_dword s22, s[4:5], 0x18
	v_add_u32_e32 v5, -1, v4
	v_add_u32_e32 v7, -1, v6
	v_add_u32_e32 v14, v5, v4
	v_add_u32_e32 v16, v7, v6
	v_lshrrev_b32_e32 v8, 5, v5
	v_lshrrev_b32_e32 v11, 5, v7
	;; [unrolled: 1-line block ×3, first 2 shown]
	v_lshl_add_u32 v18, v9, 2, v14
	v_lshl_add_u32 v19, v10, 2, v16
	v_add_u32_e32 v1, 64, v0
	v_lshrrev_b32_e32 v17, 5, v16
	v_add_u32_e32 v4, v5, v8
	v_add_u32_e32 v5, v7, v11
	v_lshl_add_u32 v11, v9, 3, v18
	v_add_u32_e32 v6, v14, v6
	v_lshl_add_u32 v14, v10, 3, v19
	v_lshrrev_b32_e32 v12, 5, v0
	v_lshrrev_b32_e32 v13, 5, v1
	s_mov_b32 s23, s7
	v_lshrrev_b32_e32 v20, 5, v18
	v_add_u32_e32 v7, v16, v17
	v_lshrrev_b32_e32 v16, 5, v11
	v_lshrrev_b32_e32 v17, 5, v14
	s_lshl_b64 s[24:25], s[6:7], 7
	v_cmp_eq_u32_e64 s[0:1], 0, v0
	v_cmp_gt_u32_e64 s[2:3], 64, v0
	v_lshrrev_b32_e32 v3, 4, v0
	v_add_u32_e32 v15, v0, v0
	v_cmp_gt_u32_e64 s[4:5], 32, v0
	v_cmp_gt_u32_e64 s[8:9], 16, v0
	;; [unrolled: 1-line block ×3, first 2 shown]
	v_lshrrev_b32_e32 v21, 5, v19
	v_cmp_gt_u32_e64 s[12:13], 4, v0
	v_add_u32_e32 v8, v18, v20
	v_cmp_gt_u32_e64 s[14:15], 2, v0
	v_lshl_add_u32 v18, v9, 4, v11
	v_lshl_add_u32 v20, v10, 4, v14
	v_add_u32_e32 v10, v11, v16
	v_add_u32_e32 v11, v14, v17
	v_mov_b32_e32 v14, s25
	v_add_u32_e32 v12, v0, v12
	v_add_u32_e32 v13, v0, v13
	v_add_co_u32_e32 v0, vcc, s24, v0
	s_waitcnt lgkmcnt(0)
	s_lshl_b64 s[24:25], s[22:23], 7
	v_add_u32_e32 v9, v19, v21
	v_lshrrev_b32_e32 v19, 5, v18
	v_lshrrev_b32_e32 v21, 5, v20
	s_add_u32 s23, s16, 64
	v_mov_b32_e32 v1, 0
	v_addc_co_u32_e32 v14, vcc, 0, v14, vcc
	s_addc_u32 s26, s17, 0
	v_add_u32_e32 v15, v15, v3
	v_add_u32_e32 v16, v18, v19
	v_mov_b32_e32 v17, s19
	v_add_u32_e32 v18, v20, v21
	s_branch .LBB1_3
.LBB1_2:                                ;   in Loop: Header=BB1_3 Depth=1
	s_or_b64 exec, exec, s[16:17]
	s_waitcnt lgkmcnt(0)
	s_barrier
	ds_read_u8 v21, v12
	ds_read_u8 v22, v13 offset:64
	v_mov_b32_e32 v20, s26
	v_add_co_u32_e32 v19, vcc, s23, v0
	v_addc_co_u32_e32 v20, vcc, v20, v14, vcc
	s_waitcnt lgkmcnt(1)
	global_store_byte v[19:20], v21, off offset:-64
	s_waitcnt lgkmcnt(0)
	global_store_byte v[19:20], v22, off
	s_add_u32 s6, s6, s22
	v_mov_b32_e32 v19, s20
	s_addc_u32 s7, s7, 0
	v_mov_b32_e32 v20, s21
	v_cmp_ge_i64_e32 vcc, s[6:7], v[19:20]
	v_mov_b32_e32 v21, s25
	v_add_co_u32_e64 v0, s[16:17], s24, v0
	v_addc_co_u32_e64 v14, s[16:17], v14, v21, s[16:17]
	s_cbranch_vccnz .LBB1_33
.LBB1_3:                                ; =>This Inner Loop Header: Depth=1
	v_add_co_u32_e32 v19, vcc, s18, v0
	v_addc_co_u32_e32 v20, vcc, v17, v14, vcc
	global_load_ubyte v21, v[19:20], off
	global_load_ubyte v22, v[19:20], off offset:64
	s_waitcnt vmcnt(1)
	ds_write_b8 v12, v21
	s_waitcnt vmcnt(0)
	ds_write_b8 v13, v22 offset:64
	s_waitcnt lgkmcnt(0)
	s_barrier
	s_and_saveexec_b64 s[16:17], s[2:3]
	s_cbranch_execz .LBB1_5
; %bb.4:                                ;   in Loop: Header=BB1_3 Depth=1
	ds_read_u8 v19, v15
	ds_read_u8 v20, v15 offset:1
	s_waitcnt lgkmcnt(0)
	v_add_u16_e32 v19, v20, v19
	ds_write_b8 v15, v19 offset:1
.LBB1_5:                                ;   in Loop: Header=BB1_3 Depth=1
	s_or_b64 exec, exec, s[16:17]
	s_waitcnt lgkmcnt(0)
	s_barrier
	s_and_saveexec_b64 s[16:17], s[4:5]
	s_cbranch_execz .LBB1_7
; %bb.6:                                ;   in Loop: Header=BB1_3 Depth=1
	ds_read_u8 v19, v4
	ds_read_u8 v20, v5
	s_waitcnt lgkmcnt(0)
	v_add_u16_e32 v19, v20, v19
	ds_write_b8 v5, v19
.LBB1_7:                                ;   in Loop: Header=BB1_3 Depth=1
	s_or_b64 exec, exec, s[16:17]
	s_waitcnt lgkmcnt(0)
	s_barrier
	s_and_saveexec_b64 s[16:17], s[8:9]
	s_cbranch_execz .LBB1_9
; %bb.8:                                ;   in Loop: Header=BB1_3 Depth=1
	ds_read_u8 v19, v6
	ds_read_u8 v20, v7
	s_waitcnt lgkmcnt(0)
	v_add_u16_e32 v19, v20, v19
	ds_write_b8 v7, v19
.LBB1_9:                                ;   in Loop: Header=BB1_3 Depth=1
	s_or_b64 exec, exec, s[16:17]
	s_waitcnt lgkmcnt(0)
	s_barrier
	s_and_saveexec_b64 s[16:17], s[10:11]
	s_cbranch_execz .LBB1_11
; %bb.10:                               ;   in Loop: Header=BB1_3 Depth=1
	ds_read_u8 v19, v8
	ds_read_u8 v20, v9
	s_waitcnt lgkmcnt(0)
	v_add_u16_e32 v19, v20, v19
	ds_write_b8 v9, v19
.LBB1_11:                               ;   in Loop: Header=BB1_3 Depth=1
	s_or_b64 exec, exec, s[16:17]
	s_waitcnt lgkmcnt(0)
	s_barrier
	s_and_saveexec_b64 s[16:17], s[12:13]
	s_cbranch_execz .LBB1_13
; %bb.12:                               ;   in Loop: Header=BB1_3 Depth=1
	ds_read_u8 v19, v10
	ds_read_u8 v20, v11
	s_waitcnt lgkmcnt(0)
	v_add_u16_e32 v19, v20, v19
	ds_write_b8 v11, v19
.LBB1_13:                               ;   in Loop: Header=BB1_3 Depth=1
	;; [unrolled: 12-line block ×3, first 2 shown]
	s_or_b64 exec, exec, s[16:17]
	s_waitcnt lgkmcnt(0)
	s_barrier
	s_and_saveexec_b64 s[16:17], s[0:1]
	s_cbranch_execz .LBB1_17
; %bb.16:                               ;   in Loop: Header=BB1_3 Depth=1
	ds_read_u8 v19, v1 offset:64
	ds_read_u8 v20, v1 offset:130
	s_waitcnt lgkmcnt(0)
	v_add_u32_e32 v19, v20, v19
	ds_write_b8 v1, v19 offset:130
.LBB1_17:                               ;   in Loop: Header=BB1_3 Depth=1
	s_or_b64 exec, exec, s[16:17]
	s_and_saveexec_b64 s[16:17], s[0:1]
; %bb.18:                               ;   in Loop: Header=BB1_3 Depth=1
	ds_write_b8 v1, v1 offset:130
; %bb.19:                               ;   in Loop: Header=BB1_3 Depth=1
	s_or_b64 exec, exec, s[16:17]
	s_waitcnt lgkmcnt(0)
	s_barrier
	s_and_saveexec_b64 s[16:17], s[0:1]
	s_cbranch_execz .LBB1_21
; %bb.20:                               ;   in Loop: Header=BB1_3 Depth=1
	ds_read_u8 v19, v1 offset:130
	ds_read_u8 v20, v1 offset:64
	s_waitcnt lgkmcnt(1)
	ds_write_b8 v1, v19 offset:64
	s_waitcnt lgkmcnt(1)
	v_add_u32_e32 v19, v19, v20
	ds_write_b8 v1, v19 offset:130
.LBB1_21:                               ;   in Loop: Header=BB1_3 Depth=1
	s_or_b64 exec, exec, s[16:17]
	s_waitcnt lgkmcnt(0)
	s_barrier
	s_and_saveexec_b64 s[16:17], s[14:15]
	s_cbranch_execz .LBB1_23
; %bb.22:                               ;   in Loop: Header=BB1_3 Depth=1
	ds_read_u8 v19, v18
	ds_read_u8 v20, v16
	s_waitcnt lgkmcnt(1)
	ds_write_b8 v16, v19
	s_waitcnt lgkmcnt(1)
	v_add_u16_e32 v19, v19, v20
	ds_write_b8 v18, v19
.LBB1_23:                               ;   in Loop: Header=BB1_3 Depth=1
	s_or_b64 exec, exec, s[16:17]
	s_waitcnt lgkmcnt(0)
	s_barrier
	s_and_saveexec_b64 s[16:17], s[12:13]
	s_cbranch_execz .LBB1_25
; %bb.24:                               ;   in Loop: Header=BB1_3 Depth=1
	ds_read_u8 v19, v11
	ds_read_u8 v20, v10
	s_waitcnt lgkmcnt(1)
	ds_write_b8 v10, v19
	s_waitcnt lgkmcnt(1)
	v_add_u16_e32 v19, v19, v20
	ds_write_b8 v11, v19
.LBB1_25:                               ;   in Loop: Header=BB1_3 Depth=1
	;; [unrolled: 14-line block ×5, first 2 shown]
	s_or_b64 exec, exec, s[16:17]
	s_waitcnt lgkmcnt(0)
	s_barrier
	s_and_saveexec_b64 s[16:17], s[2:3]
	s_cbranch_execz .LBB1_2
; %bb.32:                               ;   in Loop: Header=BB1_3 Depth=1
	v_add_u32_e32 v19, v2, v3
	ds_read_u8 v20, v19 offset:1
	ds_read_u8 v21, v19
	s_waitcnt lgkmcnt(1)
	ds_write_b8 v19, v20
	s_waitcnt lgkmcnt(1)
	v_add_u16_e32 v20, v20, v21
	ds_write_b8 v19, v20 offset:1
	s_branch .LBB1_2
.LBB1_33:
	s_endpgm
	.section	.rodata,"a",@progbits
	.p2align	6, 0x0
	.amdhsa_kernel _Z9scan_bcaoIcLi128EEvlPT_PKS0_
		.amdhsa_group_segment_fixed_size 256
		.amdhsa_private_segment_fixed_size 0
		.amdhsa_kernarg_size 280
		.amdhsa_user_sgpr_count 6
		.amdhsa_user_sgpr_private_segment_buffer 1
		.amdhsa_user_sgpr_dispatch_ptr 0
		.amdhsa_user_sgpr_queue_ptr 0
		.amdhsa_user_sgpr_kernarg_segment_ptr 1
		.amdhsa_user_sgpr_dispatch_id 0
		.amdhsa_user_sgpr_flat_scratch_init 0
		.amdhsa_user_sgpr_private_segment_size 0
		.amdhsa_uses_dynamic_stack 0
		.amdhsa_system_sgpr_private_segment_wavefront_offset 0
		.amdhsa_system_sgpr_workgroup_id_x 1
		.amdhsa_system_sgpr_workgroup_id_y 0
		.amdhsa_system_sgpr_workgroup_id_z 0
		.amdhsa_system_sgpr_workgroup_info 0
		.amdhsa_system_vgpr_workitem_id 0
		.amdhsa_next_free_vgpr 23
		.amdhsa_next_free_sgpr 27
		.amdhsa_reserve_vcc 1
		.amdhsa_reserve_flat_scratch 0
		.amdhsa_float_round_mode_32 0
		.amdhsa_float_round_mode_16_64 0
		.amdhsa_float_denorm_mode_32 3
		.amdhsa_float_denorm_mode_16_64 3
		.amdhsa_dx10_clamp 1
		.amdhsa_ieee_mode 1
		.amdhsa_fp16_overflow 0
		.amdhsa_exception_fp_ieee_invalid_op 0
		.amdhsa_exception_fp_denorm_src 0
		.amdhsa_exception_fp_ieee_div_zero 0
		.amdhsa_exception_fp_ieee_overflow 0
		.amdhsa_exception_fp_ieee_underflow 0
		.amdhsa_exception_fp_ieee_inexact 0
		.amdhsa_exception_int_div_zero 0
	.end_amdhsa_kernel
	.section	.text._Z9scan_bcaoIcLi128EEvlPT_PKS0_,"axG",@progbits,_Z9scan_bcaoIcLi128EEvlPT_PKS0_,comdat
.Lfunc_end1:
	.size	_Z9scan_bcaoIcLi128EEvlPT_PKS0_, .Lfunc_end1-_Z9scan_bcaoIcLi128EEvlPT_PKS0_
                                        ; -- End function
	.set _Z9scan_bcaoIcLi128EEvlPT_PKS0_.num_vgpr, 23
	.set _Z9scan_bcaoIcLi128EEvlPT_PKS0_.num_agpr, 0
	.set _Z9scan_bcaoIcLi128EEvlPT_PKS0_.numbered_sgpr, 27
	.set _Z9scan_bcaoIcLi128EEvlPT_PKS0_.num_named_barrier, 0
	.set _Z9scan_bcaoIcLi128EEvlPT_PKS0_.private_seg_size, 0
	.set _Z9scan_bcaoIcLi128EEvlPT_PKS0_.uses_vcc, 1
	.set _Z9scan_bcaoIcLi128EEvlPT_PKS0_.uses_flat_scratch, 0
	.set _Z9scan_bcaoIcLi128EEvlPT_PKS0_.has_dyn_sized_stack, 0
	.set _Z9scan_bcaoIcLi128EEvlPT_PKS0_.has_recursion, 0
	.set _Z9scan_bcaoIcLi128EEvlPT_PKS0_.has_indirect_call, 0
	.section	.AMDGPU.csdata,"",@progbits
; Kernel info:
; codeLenInByte = 1340
; TotalNumSgprs: 31
; NumVgprs: 23
; ScratchSize: 0
; MemoryBound: 0
; FloatMode: 240
; IeeeMode: 1
; LDSByteSize: 256 bytes/workgroup (compile time only)
; SGPRBlocks: 3
; VGPRBlocks: 5
; NumSGPRsForWavesPerEU: 31
; NumVGPRsForWavesPerEU: 23
; Occupancy: 10
; WaveLimiterHint : 0
; COMPUTE_PGM_RSRC2:SCRATCH_EN: 0
; COMPUTE_PGM_RSRC2:USER_SGPR: 6
; COMPUTE_PGM_RSRC2:TRAP_HANDLER: 0
; COMPUTE_PGM_RSRC2:TGID_X_EN: 1
; COMPUTE_PGM_RSRC2:TGID_Y_EN: 0
; COMPUTE_PGM_RSRC2:TGID_Z_EN: 0
; COMPUTE_PGM_RSRC2:TIDIG_COMP_CNT: 0
	.section	.text._Z4scanIsLi128EEvlPT_PKS0_,"axG",@progbits,_Z4scanIsLi128EEvlPT_PKS0_,comdat
	.protected	_Z4scanIsLi128EEvlPT_PKS0_ ; -- Begin function _Z4scanIsLi128EEvlPT_PKS0_
	.globl	_Z4scanIsLi128EEvlPT_PKS0_
	.p2align	8
	.type	_Z4scanIsLi128EEvlPT_PKS0_,@function
_Z4scanIsLi128EEvlPT_PKS0_:             ; @_Z4scanIsLi128EEvlPT_PKS0_
; %bb.0:
	s_load_dwordx2 s[24:25], s[4:5], 0x0
	s_mov_b32 s7, 0
	v_mov_b32_e32 v1, s6
	v_mov_b32_e32 v2, s7
	s_waitcnt lgkmcnt(0)
	v_cmp_le_i64_e32 vcc, s[24:25], v[1:2]
	s_cbranch_vccnz .LBB2_35
; %bb.1:
	v_lshlrev_b32_e32 v2, 1, v0
	v_or_b32_e32 v10, 1, v2
	v_add_u32_e32 v11, 2, v2
	s_load_dwordx4 s[20:23], s[4:5], 0x8
	s_load_dword s26, s[4:5], 0x18
	v_lshlrev_b32_e32 v4, 2, v10
	v_lshlrev_b32_e32 v5, 2, v11
	v_add_u32_e32 v2, -2, v4
	v_add_u32_e32 v3, -2, v5
	v_add_u32_e32 v4, v2, v4
	v_add_u32_e32 v5, v3, v5
	v_lshlrev_b32_e32 v1, 2, v0
	v_lshl_add_u32 v6, v10, 3, v4
	v_lshl_add_u32 v7, v11, 3, v5
	s_lshl_b64 s[18:19], s[6:7], 8
	s_mov_b32 s27, s7
	v_lshl_add_u32 v8, v10, 4, v6
	v_lshl_add_u32 v9, v11, 4, v7
	v_mov_b32_e32 v13, s19
	v_add_co_u32_e32 v12, vcc, s18, v1
	v_cmp_eq_u32_e64 s[0:1], 0, v0
	v_cmp_gt_u32_e64 s[2:3], 64, v0
	v_cmp_lt_u32_e64 s[4:5], 63, v0
	v_cmp_gt_u32_e64 s[8:9], 32, v0
	v_cmp_gt_u32_e64 s[10:11], 16, v0
	;; [unrolled: 1-line block ×5, first 2 shown]
	v_lshl_add_u32 v0, v10, 5, v8
	v_lshl_add_u32 v10, v11, 5, v9
	v_mov_b32_e32 v11, 0
	v_addc_co_u32_e32 v13, vcc, 0, v13, vcc
	s_waitcnt lgkmcnt(0)
	s_lshl_b64 s[28:29], s[26:27], 8
	v_mov_b32_e32 v14, s23
	s_branch .LBB2_3
.LBB2_2:                                ;   in Loop: Header=BB2_3 Depth=1
	s_or_b64 exec, exec, s[18:19]
	v_mov_b32_e32 v17, s21
	v_add_co_u32_e32 v16, vcc, s20, v12
	v_addc_co_u32_e32 v17, vcc, v17, v13, vcc
	s_waitcnt lgkmcnt(0)
	global_store_dword v[16:17], v15, off
	s_add_u32 s6, s6, s26
	v_mov_b32_e32 v15, s24
	s_addc_u32 s7, s7, 0
	v_mov_b32_e32 v16, s25
	v_cmp_ge_i64_e32 vcc, s[6:7], v[15:16]
	v_mov_b32_e32 v17, s29
	v_add_co_u32_e64 v12, s[18:19], s28, v12
	v_addc_co_u32_e64 v13, s[18:19], v13, v17, s[18:19]
	s_cbranch_vccnz .LBB2_35
.LBB2_3:                                ; =>This Inner Loop Header: Depth=1
	v_add_co_u32_e32 v15, vcc, s22, v12
	v_addc_co_u32_e32 v16, vcc, v14, v13, vcc
	global_load_dword v15, v[15:16], off
	s_waitcnt vmcnt(0)
	ds_write_b32 v1, v15
	s_waitcnt lgkmcnt(0)
	s_barrier
	s_and_saveexec_b64 s[18:19], s[2:3]
	s_cbranch_execz .LBB2_5
; %bb.4:                                ;   in Loop: Header=BB2_3 Depth=1
	ds_read_b32 v15, v1
	s_waitcnt lgkmcnt(0)
	v_add_u16_sdwa v15, v15, v15 dst_sel:DWORD dst_unused:UNUSED_PAD src0_sel:WORD_1 src1_sel:DWORD
	ds_write_b16 v1, v15 offset:2
.LBB2_5:                                ;   in Loop: Header=BB2_3 Depth=1
	s_or_b64 exec, exec, s[18:19]
	s_waitcnt lgkmcnt(0)
	s_barrier
	s_and_saveexec_b64 s[18:19], s[8:9]
	s_cbranch_execz .LBB2_7
; %bb.6:                                ;   in Loop: Header=BB2_3 Depth=1
	ds_read_u16 v15, v2
	ds_read_u16 v16, v3
	s_waitcnt lgkmcnt(0)
	v_add_u16_e32 v15, v16, v15
	ds_write_b16 v3, v15
.LBB2_7:                                ;   in Loop: Header=BB2_3 Depth=1
	s_or_b64 exec, exec, s[18:19]
	s_waitcnt lgkmcnt(0)
	s_barrier
	s_and_saveexec_b64 s[18:19], s[10:11]
	s_cbranch_execz .LBB2_9
; %bb.8:                                ;   in Loop: Header=BB2_3 Depth=1
	ds_read_u16 v15, v4
	ds_read_u16 v16, v5
	s_waitcnt lgkmcnt(0)
	v_add_u16_e32 v15, v16, v15
	ds_write_b16 v5, v15
.LBB2_9:                                ;   in Loop: Header=BB2_3 Depth=1
	s_or_b64 exec, exec, s[18:19]
	s_waitcnt lgkmcnt(0)
	s_barrier
	s_and_saveexec_b64 s[18:19], s[12:13]
	s_cbranch_execz .LBB2_11
; %bb.10:                               ;   in Loop: Header=BB2_3 Depth=1
	ds_read_u16 v15, v6
	ds_read_u16 v16, v7
	s_waitcnt lgkmcnt(0)
	v_add_u16_e32 v15, v16, v15
	ds_write_b16 v7, v15
.LBB2_11:                               ;   in Loop: Header=BB2_3 Depth=1
	s_or_b64 exec, exec, s[18:19]
	s_waitcnt lgkmcnt(0)
	s_barrier
	s_and_saveexec_b64 s[18:19], s[14:15]
	s_cbranch_execz .LBB2_13
; %bb.12:                               ;   in Loop: Header=BB2_3 Depth=1
	ds_read_u16 v15, v8
	ds_read_u16 v16, v9
	s_waitcnt lgkmcnt(0)
	v_add_u16_e32 v15, v16, v15
	ds_write_b16 v9, v15
.LBB2_13:                               ;   in Loop: Header=BB2_3 Depth=1
	;; [unrolled: 12-line block ×3, first 2 shown]
	s_or_b64 exec, exec, s[18:19]
	s_waitcnt lgkmcnt(0)
	s_barrier
	s_and_saveexec_b64 s[18:19], s[0:1]
	s_cbranch_execz .LBB2_17
; %bb.16:                               ;   in Loop: Header=BB2_3 Depth=1
	ds_read_u16 v15, v11 offset:126
	ds_read_u16 v16, v11 offset:254
	s_waitcnt lgkmcnt(0)
	v_add_u32_e32 v15, v16, v15
	ds_write_b16 v11, v15 offset:254
.LBB2_17:                               ;   in Loop: Header=BB2_3 Depth=1
	s_or_b64 exec, exec, s[18:19]
	s_and_saveexec_b64 s[18:19], s[0:1]
; %bb.18:                               ;   in Loop: Header=BB2_3 Depth=1
	ds_write_b16 v11, v11 offset:254
; %bb.19:                               ;   in Loop: Header=BB2_3 Depth=1
	s_or_b64 exec, exec, s[18:19]
	s_waitcnt lgkmcnt(0)
	s_barrier
	s_and_saveexec_b64 s[18:19], s[0:1]
	s_cbranch_execz .LBB2_21
; %bb.20:                               ;   in Loop: Header=BB2_3 Depth=1
	ds_read_u16 v15, v11 offset:254
	ds_read_u16 v16, v11 offset:126
	s_waitcnt lgkmcnt(1)
	ds_write_b16 v11, v15 offset:126
	s_waitcnt lgkmcnt(1)
	v_add_u32_e32 v15, v15, v16
	ds_write_b16 v11, v15 offset:254
.LBB2_21:                               ;   in Loop: Header=BB2_3 Depth=1
	s_or_b64 exec, exec, s[18:19]
	s_waitcnt lgkmcnt(0)
	s_barrier
	s_and_saveexec_b64 s[18:19], s[16:17]
	s_cbranch_execz .LBB2_23
; %bb.22:                               ;   in Loop: Header=BB2_3 Depth=1
	ds_read_u16 v15, v10
	ds_read_u16 v16, v0
	s_waitcnt lgkmcnt(1)
	ds_write_b16 v0, v15
	s_waitcnt lgkmcnt(1)
	v_add_u16_e32 v15, v15, v16
	ds_write_b16 v10, v15
.LBB2_23:                               ;   in Loop: Header=BB2_3 Depth=1
	s_or_b64 exec, exec, s[18:19]
	s_waitcnt lgkmcnt(0)
	s_barrier
	s_and_saveexec_b64 s[18:19], s[14:15]
	s_cbranch_execz .LBB2_25
; %bb.24:                               ;   in Loop: Header=BB2_3 Depth=1
	ds_read_u16 v15, v9
	ds_read_u16 v16, v8
	s_waitcnt lgkmcnt(1)
	ds_write_b16 v8, v15
	s_waitcnt lgkmcnt(1)
	v_add_u16_e32 v15, v15, v16
	ds_write_b16 v9, v15
.LBB2_25:                               ;   in Loop: Header=BB2_3 Depth=1
	;; [unrolled: 14-line block ×5, first 2 shown]
	s_or_b64 exec, exec, s[18:19]
	s_waitcnt lgkmcnt(0)
	s_barrier
                                        ; implicit-def: $vgpr15
	s_and_saveexec_b64 s[18:19], s[4:5]
	s_xor_b64 s[18:19], exec, s[18:19]
; %bb.32:                               ;   in Loop: Header=BB2_3 Depth=1
	ds_read_b32 v15, v1
; %bb.33:                               ;   in Loop: Header=BB2_3 Depth=1
	s_andn2_saveexec_b64 s[18:19], s[18:19]
	s_cbranch_execz .LBB2_2
; %bb.34:                               ;   in Loop: Header=BB2_3 Depth=1
	s_waitcnt lgkmcnt(0)
	ds_read_b32 v15, v1
	s_waitcnt lgkmcnt(0)
	v_add_u16_sdwa v16, v15, v15 dst_sel:DWORD dst_unused:UNUSED_PAD src0_sel:WORD_1 src1_sel:DWORD
	v_alignbit_b32 v15, v16, v15, 16
	ds_write_b32 v1, v15
	s_branch .LBB2_2
.LBB2_35:
	s_endpgm
	.section	.rodata,"a",@progbits
	.p2align	6, 0x0
	.amdhsa_kernel _Z4scanIsLi128EEvlPT_PKS0_
		.amdhsa_group_segment_fixed_size 256
		.amdhsa_private_segment_fixed_size 0
		.amdhsa_kernarg_size 280
		.amdhsa_user_sgpr_count 6
		.amdhsa_user_sgpr_private_segment_buffer 1
		.amdhsa_user_sgpr_dispatch_ptr 0
		.amdhsa_user_sgpr_queue_ptr 0
		.amdhsa_user_sgpr_kernarg_segment_ptr 1
		.amdhsa_user_sgpr_dispatch_id 0
		.amdhsa_user_sgpr_flat_scratch_init 0
		.amdhsa_user_sgpr_private_segment_size 0
		.amdhsa_uses_dynamic_stack 0
		.amdhsa_system_sgpr_private_segment_wavefront_offset 0
		.amdhsa_system_sgpr_workgroup_id_x 1
		.amdhsa_system_sgpr_workgroup_id_y 0
		.amdhsa_system_sgpr_workgroup_id_z 0
		.amdhsa_system_sgpr_workgroup_info 0
		.amdhsa_system_vgpr_workitem_id 0
		.amdhsa_next_free_vgpr 18
		.amdhsa_next_free_sgpr 30
		.amdhsa_reserve_vcc 1
		.amdhsa_reserve_flat_scratch 0
		.amdhsa_float_round_mode_32 0
		.amdhsa_float_round_mode_16_64 0
		.amdhsa_float_denorm_mode_32 3
		.amdhsa_float_denorm_mode_16_64 3
		.amdhsa_dx10_clamp 1
		.amdhsa_ieee_mode 1
		.amdhsa_fp16_overflow 0
		.amdhsa_exception_fp_ieee_invalid_op 0
		.amdhsa_exception_fp_denorm_src 0
		.amdhsa_exception_fp_ieee_div_zero 0
		.amdhsa_exception_fp_ieee_overflow 0
		.amdhsa_exception_fp_ieee_underflow 0
		.amdhsa_exception_fp_ieee_inexact 0
		.amdhsa_exception_int_div_zero 0
	.end_amdhsa_kernel
	.section	.text._Z4scanIsLi128EEvlPT_PKS0_,"axG",@progbits,_Z4scanIsLi128EEvlPT_PKS0_,comdat
.Lfunc_end2:
	.size	_Z4scanIsLi128EEvlPT_PKS0_, .Lfunc_end2-_Z4scanIsLi128EEvlPT_PKS0_
                                        ; -- End function
	.set _Z4scanIsLi128EEvlPT_PKS0_.num_vgpr, 18
	.set _Z4scanIsLi128EEvlPT_PKS0_.num_agpr, 0
	.set _Z4scanIsLi128EEvlPT_PKS0_.numbered_sgpr, 30
	.set _Z4scanIsLi128EEvlPT_PKS0_.num_named_barrier, 0
	.set _Z4scanIsLi128EEvlPT_PKS0_.private_seg_size, 0
	.set _Z4scanIsLi128EEvlPT_PKS0_.uses_vcc, 1
	.set _Z4scanIsLi128EEvlPT_PKS0_.uses_flat_scratch, 0
	.set _Z4scanIsLi128EEvlPT_PKS0_.has_dyn_sized_stack, 0
	.set _Z4scanIsLi128EEvlPT_PKS0_.has_recursion, 0
	.set _Z4scanIsLi128EEvlPT_PKS0_.has_indirect_call, 0
	.section	.AMDGPU.csdata,"",@progbits
; Kernel info:
; codeLenInByte = 1180
; TotalNumSgprs: 34
; NumVgprs: 18
; ScratchSize: 0
; MemoryBound: 0
; FloatMode: 240
; IeeeMode: 1
; LDSByteSize: 256 bytes/workgroup (compile time only)
; SGPRBlocks: 4
; VGPRBlocks: 4
; NumSGPRsForWavesPerEU: 34
; NumVGPRsForWavesPerEU: 18
; Occupancy: 10
; WaveLimiterHint : 0
; COMPUTE_PGM_RSRC2:SCRATCH_EN: 0
; COMPUTE_PGM_RSRC2:USER_SGPR: 6
; COMPUTE_PGM_RSRC2:TRAP_HANDLER: 0
; COMPUTE_PGM_RSRC2:TGID_X_EN: 1
; COMPUTE_PGM_RSRC2:TGID_Y_EN: 0
; COMPUTE_PGM_RSRC2:TGID_Z_EN: 0
; COMPUTE_PGM_RSRC2:TIDIG_COMP_CNT: 0
	.section	.text._Z9scan_bcaoIsLi128EEvlPT_PKS0_,"axG",@progbits,_Z9scan_bcaoIsLi128EEvlPT_PKS0_,comdat
	.protected	_Z9scan_bcaoIsLi128EEvlPT_PKS0_ ; -- Begin function _Z9scan_bcaoIsLi128EEvlPT_PKS0_
	.globl	_Z9scan_bcaoIsLi128EEvlPT_PKS0_
	.p2align	8
	.type	_Z9scan_bcaoIsLi128EEvlPT_PKS0_,@function
_Z9scan_bcaoIsLi128EEvlPT_PKS0_:        ; @_Z9scan_bcaoIsLi128EEvlPT_PKS0_
; %bb.0:
	s_load_dwordx2 s[20:21], s[4:5], 0x0
	s_mov_b32 s7, 0
	v_mov_b32_e32 v1, s6
	v_mov_b32_e32 v2, s7
	s_waitcnt lgkmcnt(0)
	v_cmp_le_i64_e32 vcc, s[20:21], v[1:2]
	s_cbranch_vccnz .LBB3_33
; %bb.1:
	v_lshlrev_b32_e32 v15, 1, v0
	v_or_b32_e32 v12, 1, v15
	v_lshlrev_b32_e32 v6, 1, v12
	v_add_u32_e32 v13, 2, v15
	v_add_u32_e32 v7, -1, v6
	v_lshlrev_b32_e32 v8, 1, v13
	v_add_u32_e32 v11, v7, v6
	v_add_u32_e32 v9, -1, v8
	v_lshrrev_b32_e32 v6, 4, v11
	v_lshrrev_b32_e32 v4, 4, v7
	;; [unrolled: 1-line block ×3, first 2 shown]
	v_and_b32_e32 v6, 0xffffffe, v6
	v_and_b32_e32 v4, 0xfe, v4
	v_lshlrev_b32_e32 v10, 1, v9
	v_and_b32_e32 v5, 0xffffffe, v5
	v_add_u32_e32 v8, v9, v8
	v_lshl_add_u32 v6, v11, 1, v6
	v_lshlrev_b32_e32 v9, 2, v13
	v_lshl_add_u32 v11, v12, 2, v11
	s_load_dwordx4 s[16:19], s[4:5], 0x8
	s_load_dword s22, s[4:5], 0x18
	v_lshl_add_u32 v4, v7, 1, v4
	v_add_u32_e32 v5, v10, v5
	v_add_u32_e32 v10, v10, v9
	v_lshrrev_b32_e32 v7, 4, v8
	v_add_u32_e32 v16, v8, v9
	v_lshrrev_b32_e32 v8, 4, v11
	v_lshlrev_b32_e32 v17, 3, v13
	v_and_b32_e32 v8, 0xffffffe, v8
	v_add_u32_e32 v18, v10, v17
	v_lshrrev_b32_e32 v9, 4, v16
	v_add_u32_e32 v16, v16, v17
	v_lshlrev_b32_e32 v17, 4, v13
	v_add_u32_e32 v2, 64, v0
	v_lshl_add_u32 v8, v11, 1, v8
	v_lshl_add_u32 v19, v12, 3, v11
	v_lshrrev_b32_e32 v11, 4, v16
	v_add_u32_e32 v16, v16, v17
	v_lshrrev_b32_e32 v1, 4, v0
	v_lshrrev_b32_e32 v2, 4, v2
	;; [unrolled: 1-line block ×3, first 2 shown]
	v_and_b32_e32 v9, 0xffffffe, v9
	v_lshrrev_b32_e32 v16, 4, v16
	v_and_b32_e32 v1, 62, v1
	v_and_b32_e32 v2, 0x7e, v2
	s_mov_b32 s23, s7
	v_and_b32_e32 v14, 0x7e, v3
	v_and_b32_e32 v7, 0xffffffe, v7
	v_add_u32_e32 v9, v18, v9
	v_add_u32_e32 v18, v18, v17
	v_lshl_add_u32 v12, v12, 4, v19
	v_lshlrev_b32_e32 v13, 5, v13
	v_and_b32_e32 v16, 0xffffffe, v16
	s_lshl_b64 s[24:25], s[6:7], 8
	v_add_u32_e32 v1, v15, v1
	v_add_u32_e32 v2, v15, v2
	v_add3_u32 v3, v15, v15, v14
	v_add_u32_e32 v7, v10, v7
	v_lshrrev_b32_e32 v10, 4, v19
	v_lshrrev_b32_e32 v17, 4, v12
	v_add3_u32 v13, v18, v13, v16
	v_mov_b32_e32 v16, s25
	v_add_co_u32_e32 v15, vcc, s24, v15
	s_waitcnt lgkmcnt(0)
	s_lshl_b64 s[24:25], s[22:23], 8
	v_and_b32_e32 v10, 0xffffffe, v10
	v_and_b32_e32 v11, 0xffffffe, v11
	;; [unrolled: 1-line block ×3, first 2 shown]
	s_add_u32 s23, s16, 0x80
	v_cmp_eq_u32_e64 s[0:1], 0, v0
	v_cmp_gt_u32_e64 s[2:3], 64, v0
	v_cmp_gt_u32_e64 s[4:5], 32, v0
	;; [unrolled: 1-line block ×5, first 2 shown]
	v_lshl_add_u32 v10, v19, 1, v10
	v_add_u32_e32 v11, v18, v11
	v_cmp_gt_u32_e64 s[14:15], 2, v0
	v_lshl_add_u32 v12, v12, 1, v17
	v_lshl_add_u32 v0, v0, 2, v14
	v_mov_b32_e32 v14, 0
	v_addc_co_u32_e32 v16, vcc, 0, v16, vcc
	s_addc_u32 s26, s17, 0
	s_branch .LBB3_3
.LBB3_2:                                ;   in Loop: Header=BB3_3 Depth=1
	s_or_b64 exec, exec, s[16:17]
	s_waitcnt lgkmcnt(0)
	s_barrier
	ds_read_u16 v19, v1
	ds_read_u16 v20, v2 offset:128
	v_mov_b32_e32 v18, s26
	v_add_co_u32_e32 v17, vcc, s23, v15
	v_addc_co_u32_e32 v18, vcc, v18, v16, vcc
	s_waitcnt lgkmcnt(1)
	global_store_short v[17:18], v19, off offset:-128
	s_waitcnt lgkmcnt(0)
	global_store_short v[17:18], v20, off
	s_add_u32 s6, s6, s22
	v_mov_b32_e32 v17, s20
	s_addc_u32 s7, s7, 0
	v_mov_b32_e32 v18, s21
	v_cmp_ge_i64_e32 vcc, s[6:7], v[17:18]
	v_mov_b32_e32 v19, s25
	v_add_co_u32_e64 v15, s[16:17], s24, v15
	v_addc_co_u32_e64 v16, s[16:17], v16, v19, s[16:17]
	s_cbranch_vccnz .LBB3_33
.LBB3_3:                                ; =>This Inner Loop Header: Depth=1
	v_mov_b32_e32 v18, s19
	v_add_co_u32_e32 v17, vcc, s18, v15
	v_addc_co_u32_e32 v18, vcc, v18, v16, vcc
	global_load_ushort v19, v[17:18], off
	global_load_ushort v20, v[17:18], off offset:128
	s_waitcnt vmcnt(1)
	ds_write_b16 v1, v19
	s_waitcnt vmcnt(0)
	ds_write_b16 v2, v20 offset:128
	s_waitcnt lgkmcnt(0)
	s_barrier
	s_and_saveexec_b64 s[16:17], s[2:3]
	s_cbranch_execz .LBB3_5
; %bb.4:                                ;   in Loop: Header=BB3_3 Depth=1
	ds_read_u16 v17, v3
	ds_read_u16 v18, v3 offset:2
	s_waitcnt lgkmcnt(0)
	v_add_u16_e32 v17, v18, v17
	ds_write_b16 v3, v17 offset:2
.LBB3_5:                                ;   in Loop: Header=BB3_3 Depth=1
	s_or_b64 exec, exec, s[16:17]
	s_waitcnt lgkmcnt(0)
	s_barrier
	s_and_saveexec_b64 s[16:17], s[4:5]
	s_cbranch_execz .LBB3_7
; %bb.6:                                ;   in Loop: Header=BB3_3 Depth=1
	ds_read_u16 v17, v4
	ds_read_u16 v18, v5
	s_waitcnt lgkmcnt(0)
	v_add_u16_e32 v17, v18, v17
	ds_write_b16 v5, v17
.LBB3_7:                                ;   in Loop: Header=BB3_3 Depth=1
	s_or_b64 exec, exec, s[16:17]
	s_waitcnt lgkmcnt(0)
	s_barrier
	s_and_saveexec_b64 s[16:17], s[8:9]
	s_cbranch_execz .LBB3_9
; %bb.8:                                ;   in Loop: Header=BB3_3 Depth=1
	ds_read_u16 v17, v6
	ds_read_u16 v18, v7
	s_waitcnt lgkmcnt(0)
	v_add_u16_e32 v17, v18, v17
	ds_write_b16 v7, v17
.LBB3_9:                                ;   in Loop: Header=BB3_3 Depth=1
	s_or_b64 exec, exec, s[16:17]
	s_waitcnt lgkmcnt(0)
	s_barrier
	s_and_saveexec_b64 s[16:17], s[10:11]
	s_cbranch_execz .LBB3_11
; %bb.10:                               ;   in Loop: Header=BB3_3 Depth=1
	ds_read_u16 v17, v8
	ds_read_u16 v18, v9
	s_waitcnt lgkmcnt(0)
	v_add_u16_e32 v17, v18, v17
	ds_write_b16 v9, v17
.LBB3_11:                               ;   in Loop: Header=BB3_3 Depth=1
	s_or_b64 exec, exec, s[16:17]
	s_waitcnt lgkmcnt(0)
	s_barrier
	s_and_saveexec_b64 s[16:17], s[12:13]
	s_cbranch_execz .LBB3_13
; %bb.12:                               ;   in Loop: Header=BB3_3 Depth=1
	ds_read_u16 v17, v10
	ds_read_u16 v18, v11
	s_waitcnt lgkmcnt(0)
	v_add_u16_e32 v17, v18, v17
	ds_write_b16 v11, v17
.LBB3_13:                               ;   in Loop: Header=BB3_3 Depth=1
	;; [unrolled: 12-line block ×3, first 2 shown]
	s_or_b64 exec, exec, s[16:17]
	s_waitcnt lgkmcnt(0)
	s_barrier
	s_and_saveexec_b64 s[16:17], s[0:1]
	s_cbranch_execz .LBB3_17
; %bb.16:                               ;   in Loop: Header=BB3_3 Depth=1
	ds_read_u16 v17, v14 offset:128
	ds_read_u16 v18, v14 offset:260
	s_waitcnt lgkmcnt(0)
	v_add_u32_e32 v17, v18, v17
	ds_write_b16 v14, v17 offset:260
.LBB3_17:                               ;   in Loop: Header=BB3_3 Depth=1
	s_or_b64 exec, exec, s[16:17]
	s_and_saveexec_b64 s[16:17], s[0:1]
; %bb.18:                               ;   in Loop: Header=BB3_3 Depth=1
	ds_write_b16 v14, v14 offset:260
; %bb.19:                               ;   in Loop: Header=BB3_3 Depth=1
	s_or_b64 exec, exec, s[16:17]
	s_waitcnt lgkmcnt(0)
	s_barrier
	s_and_saveexec_b64 s[16:17], s[0:1]
	s_cbranch_execz .LBB3_21
; %bb.20:                               ;   in Loop: Header=BB3_3 Depth=1
	ds_read_u16 v17, v14 offset:260
	ds_read_u16 v18, v14 offset:128
	s_waitcnt lgkmcnt(1)
	ds_write_b16 v14, v17 offset:128
	s_waitcnt lgkmcnt(1)
	v_add_u32_e32 v17, v17, v18
	ds_write_b16 v14, v17 offset:260
.LBB3_21:                               ;   in Loop: Header=BB3_3 Depth=1
	s_or_b64 exec, exec, s[16:17]
	s_waitcnt lgkmcnt(0)
	s_barrier
	s_and_saveexec_b64 s[16:17], s[14:15]
	s_cbranch_execz .LBB3_23
; %bb.22:                               ;   in Loop: Header=BB3_3 Depth=1
	ds_read_u16 v17, v13
	ds_read_u16 v18, v12
	s_waitcnt lgkmcnt(1)
	ds_write_b16 v12, v17
	s_waitcnt lgkmcnt(1)
	v_add_u16_e32 v17, v17, v18
	ds_write_b16 v13, v17
.LBB3_23:                               ;   in Loop: Header=BB3_3 Depth=1
	s_or_b64 exec, exec, s[16:17]
	s_waitcnt lgkmcnt(0)
	s_barrier
	s_and_saveexec_b64 s[16:17], s[12:13]
	s_cbranch_execz .LBB3_25
; %bb.24:                               ;   in Loop: Header=BB3_3 Depth=1
	ds_read_u16 v17, v11
	ds_read_u16 v18, v10
	s_waitcnt lgkmcnt(1)
	ds_write_b16 v10, v17
	s_waitcnt lgkmcnt(1)
	v_add_u16_e32 v17, v17, v18
	ds_write_b16 v11, v17
.LBB3_25:                               ;   in Loop: Header=BB3_3 Depth=1
	;; [unrolled: 14-line block ×5, first 2 shown]
	s_or_b64 exec, exec, s[16:17]
	s_waitcnt lgkmcnt(0)
	s_barrier
	s_and_saveexec_b64 s[16:17], s[2:3]
	s_cbranch_execz .LBB3_2
; %bb.32:                               ;   in Loop: Header=BB3_3 Depth=1
	ds_read_u16 v17, v0 offset:2
	ds_read_u16 v18, v0
	s_waitcnt lgkmcnt(1)
	ds_write_b16 v0, v17
	s_waitcnt lgkmcnt(1)
	v_add_u16_e32 v17, v17, v18
	ds_write_b16 v0, v17 offset:2
	s_branch .LBB3_2
.LBB3_33:
	s_endpgm
	.section	.rodata,"a",@progbits
	.p2align	6, 0x0
	.amdhsa_kernel _Z9scan_bcaoIsLi128EEvlPT_PKS0_
		.amdhsa_group_segment_fixed_size 512
		.amdhsa_private_segment_fixed_size 0
		.amdhsa_kernarg_size 280
		.amdhsa_user_sgpr_count 6
		.amdhsa_user_sgpr_private_segment_buffer 1
		.amdhsa_user_sgpr_dispatch_ptr 0
		.amdhsa_user_sgpr_queue_ptr 0
		.amdhsa_user_sgpr_kernarg_segment_ptr 1
		.amdhsa_user_sgpr_dispatch_id 0
		.amdhsa_user_sgpr_flat_scratch_init 0
		.amdhsa_user_sgpr_private_segment_size 0
		.amdhsa_uses_dynamic_stack 0
		.amdhsa_system_sgpr_private_segment_wavefront_offset 0
		.amdhsa_system_sgpr_workgroup_id_x 1
		.amdhsa_system_sgpr_workgroup_id_y 0
		.amdhsa_system_sgpr_workgroup_id_z 0
		.amdhsa_system_sgpr_workgroup_info 0
		.amdhsa_system_vgpr_workitem_id 0
		.amdhsa_next_free_vgpr 21
		.amdhsa_next_free_sgpr 27
		.amdhsa_reserve_vcc 1
		.amdhsa_reserve_flat_scratch 0
		.amdhsa_float_round_mode_32 0
		.amdhsa_float_round_mode_16_64 0
		.amdhsa_float_denorm_mode_32 3
		.amdhsa_float_denorm_mode_16_64 3
		.amdhsa_dx10_clamp 1
		.amdhsa_ieee_mode 1
		.amdhsa_fp16_overflow 0
		.amdhsa_exception_fp_ieee_invalid_op 0
		.amdhsa_exception_fp_denorm_src 0
		.amdhsa_exception_fp_ieee_div_zero 0
		.amdhsa_exception_fp_ieee_overflow 0
		.amdhsa_exception_fp_ieee_underflow 0
		.amdhsa_exception_fp_ieee_inexact 0
		.amdhsa_exception_int_div_zero 0
	.end_amdhsa_kernel
	.section	.text._Z9scan_bcaoIsLi128EEvlPT_PKS0_,"axG",@progbits,_Z9scan_bcaoIsLi128EEvlPT_PKS0_,comdat
.Lfunc_end3:
	.size	_Z9scan_bcaoIsLi128EEvlPT_PKS0_, .Lfunc_end3-_Z9scan_bcaoIsLi128EEvlPT_PKS0_
                                        ; -- End function
	.set _Z9scan_bcaoIsLi128EEvlPT_PKS0_.num_vgpr, 21
	.set _Z9scan_bcaoIsLi128EEvlPT_PKS0_.num_agpr, 0
	.set _Z9scan_bcaoIsLi128EEvlPT_PKS0_.numbered_sgpr, 27
	.set _Z9scan_bcaoIsLi128EEvlPT_PKS0_.num_named_barrier, 0
	.set _Z9scan_bcaoIsLi128EEvlPT_PKS0_.private_seg_size, 0
	.set _Z9scan_bcaoIsLi128EEvlPT_PKS0_.uses_vcc, 1
	.set _Z9scan_bcaoIsLi128EEvlPT_PKS0_.uses_flat_scratch, 0
	.set _Z9scan_bcaoIsLi128EEvlPT_PKS0_.has_dyn_sized_stack, 0
	.set _Z9scan_bcaoIsLi128EEvlPT_PKS0_.has_recursion, 0
	.set _Z9scan_bcaoIsLi128EEvlPT_PKS0_.has_indirect_call, 0
	.section	.AMDGPU.csdata,"",@progbits
; Kernel info:
; codeLenInByte = 1492
; TotalNumSgprs: 31
; NumVgprs: 21
; ScratchSize: 0
; MemoryBound: 0
; FloatMode: 240
; IeeeMode: 1
; LDSByteSize: 512 bytes/workgroup (compile time only)
; SGPRBlocks: 3
; VGPRBlocks: 5
; NumSGPRsForWavesPerEU: 31
; NumVGPRsForWavesPerEU: 21
; Occupancy: 10
; WaveLimiterHint : 1
; COMPUTE_PGM_RSRC2:SCRATCH_EN: 0
; COMPUTE_PGM_RSRC2:USER_SGPR: 6
; COMPUTE_PGM_RSRC2:TRAP_HANDLER: 0
; COMPUTE_PGM_RSRC2:TGID_X_EN: 1
; COMPUTE_PGM_RSRC2:TGID_Y_EN: 0
; COMPUTE_PGM_RSRC2:TGID_Z_EN: 0
; COMPUTE_PGM_RSRC2:TIDIG_COMP_CNT: 0
	.section	.text._Z4scanIiLi128EEvlPT_PKS0_,"axG",@progbits,_Z4scanIiLi128EEvlPT_PKS0_,comdat
	.protected	_Z4scanIiLi128EEvlPT_PKS0_ ; -- Begin function _Z4scanIiLi128EEvlPT_PKS0_
	.globl	_Z4scanIiLi128EEvlPT_PKS0_
	.p2align	8
	.type	_Z4scanIiLi128EEvlPT_PKS0_,@function
_Z4scanIiLi128EEvlPT_PKS0_:             ; @_Z4scanIiLi128EEvlPT_PKS0_
; %bb.0:
	s_load_dwordx2 s[24:25], s[4:5], 0x0
	s_mov_b32 s7, 0
	v_mov_b32_e32 v1, s6
	v_mov_b32_e32 v2, s7
	s_waitcnt lgkmcnt(0)
	v_cmp_le_i64_e32 vcc, s[24:25], v[1:2]
	s_cbranch_vccnz .LBB4_35
; %bb.1:
	v_lshlrev_b32_e32 v1, 1, v0
	s_load_dwordx4 s[20:23], s[4:5], 0x8
	s_load_dword s26, s[4:5], 0x18
	v_or_b32_e32 v11, 1, v1
	v_add_u32_e32 v1, 2, v1
	v_lshlrev_b32_e32 v5, 3, v11
	v_lshlrev_b32_e32 v6, 3, v1
	v_add_u32_e32 v3, -4, v5
	v_add_u32_e32 v4, -4, v6
	s_mov_b32 s27, s7
	v_add_u32_e32 v5, v3, v5
	v_add_u32_e32 v6, v4, v6
	v_lshlrev_b32_e32 v2, 3, v0
	v_lshl_add_u32 v7, v11, 4, v5
	v_lshl_add_u32 v8, v1, 4, v6
	s_lshl_b64 s[18:19], s[6:7], 9
	s_waitcnt lgkmcnt(0)
	s_lshl_b64 s[28:29], s[26:27], 9
	v_cmp_eq_u32_e64 s[0:1], 0, v0
	v_cmp_gt_u32_e64 s[2:3], 64, v0
	v_cmp_lt_u32_e64 s[4:5], 63, v0
	v_cmp_gt_u32_e64 s[8:9], 32, v0
	v_cmp_gt_u32_e64 s[10:11], 16, v0
	;; [unrolled: 1-line block ×4, first 2 shown]
	v_lshl_add_u32 v9, v11, 5, v7
	v_lshl_add_u32 v10, v1, 5, v8
	v_cmp_gt_u32_e64 s[16:17], 2, v0
	v_mov_b32_e32 v0, s19
	v_add_co_u32_e32 v14, vcc, s18, v2
	s_add_u32 s20, s20, 4
	v_lshl_add_u32 v11, v11, 6, v9
	v_lshl_add_u32 v12, v1, 6, v10
	v_mov_b32_e32 v13, 0
	v_addc_co_u32_e32 v15, vcc, 0, v0, vcc
	s_addc_u32 s21, s21, 0
	v_mov_b32_e32 v16, s23
	s_branch .LBB4_3
.LBB4_2:                                ;   in Loop: Header=BB4_3 Depth=1
	s_or_b64 exec, exec, s[18:19]
	v_mov_b32_e32 v18, s21
	v_add_co_u32_e32 v17, vcc, s20, v14
	v_addc_co_u32_e32 v18, vcc, v18, v15, vcc
	s_waitcnt lgkmcnt(0)
	global_store_dwordx2 v[17:18], v[0:1], off offset:-4
	s_add_u32 s6, s6, s26
	v_mov_b32_e32 v0, s24
	s_addc_u32 s7, s7, 0
	v_mov_b32_e32 v1, s25
	v_cmp_ge_i64_e32 vcc, s[6:7], v[0:1]
	v_mov_b32_e32 v17, s29
	v_add_co_u32_e64 v14, s[18:19], s28, v14
	v_addc_co_u32_e64 v15, s[18:19], v15, v17, s[18:19]
	s_cbranch_vccnz .LBB4_35
.LBB4_3:                                ; =>This Inner Loop Header: Depth=1
	v_add_co_u32_e32 v0, vcc, s22, v14
	v_addc_co_u32_e32 v1, vcc, v16, v15, vcc
	global_load_dwordx2 v[0:1], v[0:1], off
	s_waitcnt vmcnt(0)
	ds_write_b64 v2, v[0:1]
	s_waitcnt lgkmcnt(0)
	s_barrier
	s_and_saveexec_b64 s[18:19], s[2:3]
	s_cbranch_execz .LBB4_5
; %bb.4:                                ;   in Loop: Header=BB4_3 Depth=1
	ds_read_b64 v[0:1], v2
	s_waitcnt lgkmcnt(0)
	v_add_u32_e32 v0, v1, v0
	ds_write_b32 v2, v0 offset:4
.LBB4_5:                                ;   in Loop: Header=BB4_3 Depth=1
	s_or_b64 exec, exec, s[18:19]
	s_waitcnt lgkmcnt(0)
	s_barrier
	s_and_saveexec_b64 s[18:19], s[8:9]
	s_cbranch_execz .LBB4_7
; %bb.6:                                ;   in Loop: Header=BB4_3 Depth=1
	ds_read_b32 v0, v3
	ds_read_b32 v1, v4
	s_waitcnt lgkmcnt(0)
	v_add_u32_e32 v0, v1, v0
	ds_write_b32 v4, v0
.LBB4_7:                                ;   in Loop: Header=BB4_3 Depth=1
	s_or_b64 exec, exec, s[18:19]
	s_waitcnt lgkmcnt(0)
	s_barrier
	s_and_saveexec_b64 s[18:19], s[10:11]
	s_cbranch_execz .LBB4_9
; %bb.8:                                ;   in Loop: Header=BB4_3 Depth=1
	ds_read_b32 v0, v5
	ds_read_b32 v1, v6
	s_waitcnt lgkmcnt(0)
	v_add_u32_e32 v0, v1, v0
	ds_write_b32 v6, v0
.LBB4_9:                                ;   in Loop: Header=BB4_3 Depth=1
	s_or_b64 exec, exec, s[18:19]
	s_waitcnt lgkmcnt(0)
	s_barrier
	s_and_saveexec_b64 s[18:19], s[12:13]
	s_cbranch_execz .LBB4_11
; %bb.10:                               ;   in Loop: Header=BB4_3 Depth=1
	ds_read_b32 v0, v7
	ds_read_b32 v1, v8
	s_waitcnt lgkmcnt(0)
	v_add_u32_e32 v0, v1, v0
	ds_write_b32 v8, v0
.LBB4_11:                               ;   in Loop: Header=BB4_3 Depth=1
	s_or_b64 exec, exec, s[18:19]
	s_waitcnt lgkmcnt(0)
	s_barrier
	s_and_saveexec_b64 s[18:19], s[14:15]
	s_cbranch_execz .LBB4_13
; %bb.12:                               ;   in Loop: Header=BB4_3 Depth=1
	ds_read_b32 v0, v9
	ds_read_b32 v1, v10
	s_waitcnt lgkmcnt(0)
	v_add_u32_e32 v0, v1, v0
	ds_write_b32 v10, v0
.LBB4_13:                               ;   in Loop: Header=BB4_3 Depth=1
	s_or_b64 exec, exec, s[18:19]
	s_waitcnt lgkmcnt(0)
	s_barrier
	s_and_saveexec_b64 s[18:19], s[16:17]
	s_cbranch_execz .LBB4_15
; %bb.14:                               ;   in Loop: Header=BB4_3 Depth=1
	ds_read_b32 v0, v11
	ds_read_b32 v1, v12
	s_waitcnt lgkmcnt(0)
	v_add_u32_e32 v0, v1, v0
	ds_write_b32 v12, v0
.LBB4_15:                               ;   in Loop: Header=BB4_3 Depth=1
	s_or_b64 exec, exec, s[18:19]
	s_waitcnt lgkmcnt(0)
	s_barrier
	s_and_saveexec_b64 s[18:19], s[0:1]
	s_cbranch_execz .LBB4_17
; %bb.16:                               ;   in Loop: Header=BB4_3 Depth=1
	ds_read2_b32 v[0:1], v13 offset0:63 offset1:127
	s_waitcnt lgkmcnt(0)
	v_add_u32_e32 v0, v1, v0
	ds_write_b32 v13, v0 offset:508
.LBB4_17:                               ;   in Loop: Header=BB4_3 Depth=1
	s_or_b64 exec, exec, s[18:19]
	s_and_saveexec_b64 s[18:19], s[0:1]
; %bb.18:                               ;   in Loop: Header=BB4_3 Depth=1
	ds_write_b32 v13, v13 offset:508
; %bb.19:                               ;   in Loop: Header=BB4_3 Depth=1
	s_or_b64 exec, exec, s[18:19]
	s_waitcnt lgkmcnt(0)
	s_barrier
	s_and_saveexec_b64 s[18:19], s[0:1]
	s_cbranch_execz .LBB4_21
; %bb.20:                               ;   in Loop: Header=BB4_3 Depth=1
	ds_read2_b32 v[0:1], v13 offset0:63 offset1:127
	s_waitcnt lgkmcnt(0)
	v_add_u32_e32 v0, v1, v0
	ds_write2_b32 v13, v1, v0 offset0:63 offset1:127
.LBB4_21:                               ;   in Loop: Header=BB4_3 Depth=1
	s_or_b64 exec, exec, s[18:19]
	s_waitcnt lgkmcnt(0)
	s_barrier
	s_and_saveexec_b64 s[18:19], s[16:17]
	s_cbranch_execz .LBB4_23
; %bb.22:                               ;   in Loop: Header=BB4_3 Depth=1
	ds_read_b32 v0, v12
	ds_read_b32 v1, v11
	s_waitcnt lgkmcnt(1)
	ds_write_b32 v11, v0
	s_waitcnt lgkmcnt(1)
	v_add_u32_e32 v0, v0, v1
	ds_write_b32 v12, v0
.LBB4_23:                               ;   in Loop: Header=BB4_3 Depth=1
	s_or_b64 exec, exec, s[18:19]
	s_waitcnt lgkmcnt(0)
	s_barrier
	s_and_saveexec_b64 s[18:19], s[14:15]
	s_cbranch_execz .LBB4_25
; %bb.24:                               ;   in Loop: Header=BB4_3 Depth=1
	ds_read_b32 v0, v10
	ds_read_b32 v1, v9
	s_waitcnt lgkmcnt(1)
	ds_write_b32 v9, v0
	s_waitcnt lgkmcnt(1)
	v_add_u32_e32 v0, v0, v1
	ds_write_b32 v10, v0
.LBB4_25:                               ;   in Loop: Header=BB4_3 Depth=1
	;; [unrolled: 14-line block ×5, first 2 shown]
	s_or_b64 exec, exec, s[18:19]
	s_waitcnt lgkmcnt(0)
	s_barrier
                                        ; implicit-def: $vgpr0
	s_and_saveexec_b64 s[18:19], s[4:5]
	s_xor_b64 s[18:19], exec, s[18:19]
; %bb.32:                               ;   in Loop: Header=BB4_3 Depth=1
	ds_read_b64 v[0:1], v2
; %bb.33:                               ;   in Loop: Header=BB4_3 Depth=1
	s_andn2_saveexec_b64 s[18:19], s[18:19]
	s_cbranch_execz .LBB4_2
; %bb.34:                               ;   in Loop: Header=BB4_3 Depth=1
	ds_read_b64 v[17:18], v2
	s_waitcnt lgkmcnt(0)
	v_add_u32_e32 v1, v18, v17
	v_mov_b32_e32 v0, v18
	ds_write_b64 v2, v[0:1]
	s_branch .LBB4_2
.LBB4_35:
	s_endpgm
	.section	.rodata,"a",@progbits
	.p2align	6, 0x0
	.amdhsa_kernel _Z4scanIiLi128EEvlPT_PKS0_
		.amdhsa_group_segment_fixed_size 512
		.amdhsa_private_segment_fixed_size 0
		.amdhsa_kernarg_size 280
		.amdhsa_user_sgpr_count 6
		.amdhsa_user_sgpr_private_segment_buffer 1
		.amdhsa_user_sgpr_dispatch_ptr 0
		.amdhsa_user_sgpr_queue_ptr 0
		.amdhsa_user_sgpr_kernarg_segment_ptr 1
		.amdhsa_user_sgpr_dispatch_id 0
		.amdhsa_user_sgpr_flat_scratch_init 0
		.amdhsa_user_sgpr_private_segment_size 0
		.amdhsa_uses_dynamic_stack 0
		.amdhsa_system_sgpr_private_segment_wavefront_offset 0
		.amdhsa_system_sgpr_workgroup_id_x 1
		.amdhsa_system_sgpr_workgroup_id_y 0
		.amdhsa_system_sgpr_workgroup_id_z 0
		.amdhsa_system_sgpr_workgroup_info 0
		.amdhsa_system_vgpr_workitem_id 0
		.amdhsa_next_free_vgpr 19
		.amdhsa_next_free_sgpr 30
		.amdhsa_reserve_vcc 1
		.amdhsa_reserve_flat_scratch 0
		.amdhsa_float_round_mode_32 0
		.amdhsa_float_round_mode_16_64 0
		.amdhsa_float_denorm_mode_32 3
		.amdhsa_float_denorm_mode_16_64 3
		.amdhsa_dx10_clamp 1
		.amdhsa_ieee_mode 1
		.amdhsa_fp16_overflow 0
		.amdhsa_exception_fp_ieee_invalid_op 0
		.amdhsa_exception_fp_denorm_src 0
		.amdhsa_exception_fp_ieee_div_zero 0
		.amdhsa_exception_fp_ieee_overflow 0
		.amdhsa_exception_fp_ieee_underflow 0
		.amdhsa_exception_fp_ieee_inexact 0
		.amdhsa_exception_int_div_zero 0
	.end_amdhsa_kernel
	.section	.text._Z4scanIiLi128EEvlPT_PKS0_,"axG",@progbits,_Z4scanIiLi128EEvlPT_PKS0_,comdat
.Lfunc_end4:
	.size	_Z4scanIiLi128EEvlPT_PKS0_, .Lfunc_end4-_Z4scanIiLi128EEvlPT_PKS0_
                                        ; -- End function
	.set _Z4scanIiLi128EEvlPT_PKS0_.num_vgpr, 19
	.set _Z4scanIiLi128EEvlPT_PKS0_.num_agpr, 0
	.set _Z4scanIiLi128EEvlPT_PKS0_.numbered_sgpr, 30
	.set _Z4scanIiLi128EEvlPT_PKS0_.num_named_barrier, 0
	.set _Z4scanIiLi128EEvlPT_PKS0_.private_seg_size, 0
	.set _Z4scanIiLi128EEvlPT_PKS0_.uses_vcc, 1
	.set _Z4scanIiLi128EEvlPT_PKS0_.uses_flat_scratch, 0
	.set _Z4scanIiLi128EEvlPT_PKS0_.has_dyn_sized_stack, 0
	.set _Z4scanIiLi128EEvlPT_PKS0_.has_recursion, 0
	.set _Z4scanIiLi128EEvlPT_PKS0_.has_indirect_call, 0
	.section	.AMDGPU.csdata,"",@progbits
; Kernel info:
; codeLenInByte = 1144
; TotalNumSgprs: 34
; NumVgprs: 19
; ScratchSize: 0
; MemoryBound: 0
; FloatMode: 240
; IeeeMode: 1
; LDSByteSize: 512 bytes/workgroup (compile time only)
; SGPRBlocks: 4
; VGPRBlocks: 4
; NumSGPRsForWavesPerEU: 34
; NumVGPRsForWavesPerEU: 19
; Occupancy: 10
; WaveLimiterHint : 0
; COMPUTE_PGM_RSRC2:SCRATCH_EN: 0
; COMPUTE_PGM_RSRC2:USER_SGPR: 6
; COMPUTE_PGM_RSRC2:TRAP_HANDLER: 0
; COMPUTE_PGM_RSRC2:TGID_X_EN: 1
; COMPUTE_PGM_RSRC2:TGID_Y_EN: 0
; COMPUTE_PGM_RSRC2:TGID_Z_EN: 0
; COMPUTE_PGM_RSRC2:TIDIG_COMP_CNT: 0
	.section	.text._Z9scan_bcaoIiLi128EEvlPT_PKS0_,"axG",@progbits,_Z9scan_bcaoIiLi128EEvlPT_PKS0_,comdat
	.protected	_Z9scan_bcaoIiLi128EEvlPT_PKS0_ ; -- Begin function _Z9scan_bcaoIiLi128EEvlPT_PKS0_
	.globl	_Z9scan_bcaoIiLi128EEvlPT_PKS0_
	.p2align	8
	.type	_Z9scan_bcaoIiLi128EEvlPT_PKS0_,@function
_Z9scan_bcaoIiLi128EEvlPT_PKS0_:        ; @_Z9scan_bcaoIiLi128EEvlPT_PKS0_
; %bb.0:
	s_load_dwordx2 s[20:21], s[4:5], 0x0
	s_mov_b32 s7, 0
	v_mov_b32_e32 v1, s6
	v_mov_b32_e32 v2, s7
	s_waitcnt lgkmcnt(0)
	v_cmp_le_i64_e32 vcc, s[20:21], v[1:2]
	s_cbranch_vccnz .LBB5_33
; %bb.1:
	v_lshlrev_b32_e32 v3, 1, v0
	v_or_b32_e32 v12, 1, v3
	v_add_u32_e32 v13, 2, v3
	v_lshlrev_b32_e32 v6, 1, v12
	v_add_u32_e32 v7, -1, v6
	v_lshlrev_b32_e32 v8, 1, v13
	v_add_u32_e32 v9, -1, v8
	v_add_u32_e32 v11, v7, v6
	v_lshrrev_b32_e32 v4, 3, v7
	v_lshrrev_b32_e32 v5, 3, v9
	;; [unrolled: 1-line block ×3, first 2 shown]
	v_and_b32_e32 v4, 0x1fc, v4
	v_lshlrev_b32_e32 v10, 2, v9
	v_and_b32_e32 v5, 0x1ffffffc, v5
	v_add_u32_e32 v8, v9, v8
	v_and_b32_e32 v6, 0x1ffffffc, v6
	v_lshlrev_b32_e32 v16, 3, v13
	s_load_dwordx4 s[16:19], s[4:5], 0x8
	s_load_dword s22, s[4:5], 0x18
	v_lshl_add_u32 v4, v7, 2, v4
	v_add_u32_e32 v5, v10, v5
	v_lshl_add_u32 v6, v11, 2, v6
	v_add_u32_e32 v9, v10, v16
	v_lshrrev_b32_e32 v7, 3, v8
	v_lshl_add_u32 v10, v12, 2, v11
	v_lshl_add_u32 v11, v13, 2, v8
	v_and_b32_e32 v7, 0x1ffffffc, v7
	v_lshlrev_b32_e32 v17, 4, v13
	v_add_u32_e32 v16, v11, v16
	v_add_u32_e32 v2, 64, v0
	;; [unrolled: 1-line block ×4, first 2 shown]
	v_lshrrev_b32_e32 v9, 3, v11
	v_lshrrev_b32_e32 v11, 3, v16
	v_add_u32_e32 v16, v16, v17
	v_lshrrev_b32_e32 v1, 3, v0
	v_lshrrev_b32_e32 v2, 3, v2
	;; [unrolled: 1-line block ×4, first 2 shown]
	v_and_b32_e32 v9, 0x1ffffffc, v9
	v_lshl_add_u32 v19, v12, 3, v10
	v_lshrrev_b32_e32 v16, 3, v16
	v_lshlrev_b32_e32 v15, 2, v0
	v_and_b32_e32 v1, 0x7c, v1
	v_and_b32_e32 v2, 0xfc, v2
	s_mov_b32 s23, s7
	v_and_b32_e32 v14, 0xfc, v3
	v_and_b32_e32 v8, 0x1ffffffc, v8
	v_add_u32_e32 v9, v18, v9
	v_lshl_add_u32 v18, v13, 5, v18
	v_lshl_add_u32 v12, v12, 4, v19
	v_lshlrev_b32_e32 v13, 6, v13
	v_and_b32_e32 v16, 0x1ffffffc, v16
	s_lshl_b64 s[24:25], s[6:7], 9
	v_add_u32_e32 v1, v15, v1
	v_add_u32_e32 v2, v15, v2
	v_add3_u32 v3, v15, v15, v14
	v_lshl_add_u32 v8, v10, 2, v8
	v_lshrrev_b32_e32 v10, 3, v19
	v_lshrrev_b32_e32 v17, 3, v12
	v_add3_u32 v13, v18, v13, v16
	v_mov_b32_e32 v16, s25
	v_add_co_u32_e32 v15, vcc, s24, v15
	s_waitcnt lgkmcnt(0)
	s_lshl_b64 s[24:25], s[22:23], 9
	v_and_b32_e32 v10, 0x1ffffffc, v10
	v_and_b32_e32 v11, 0x1ffffffc, v11
	;; [unrolled: 1-line block ×3, first 2 shown]
	s_add_u32 s23, s16, 0x100
	v_cmp_eq_u32_e64 s[0:1], 0, v0
	v_cmp_gt_u32_e64 s[2:3], 64, v0
	v_cmp_gt_u32_e64 s[4:5], 32, v0
	;; [unrolled: 1-line block ×5, first 2 shown]
	v_lshl_add_u32 v10, v19, 2, v10
	v_add_u32_e32 v11, v18, v11
	v_cmp_gt_u32_e64 s[14:15], 2, v0
	v_lshl_add_u32 v12, v12, 2, v17
	v_lshl_add_u32 v0, v0, 3, v14
	v_mov_b32_e32 v14, 0
	v_addc_co_u32_e32 v16, vcc, 0, v16, vcc
	s_addc_u32 s26, s17, 0
	s_branch .LBB5_3
.LBB5_2:                                ;   in Loop: Header=BB5_3 Depth=1
	s_or_b64 exec, exec, s[16:17]
	s_waitcnt lgkmcnt(0)
	s_barrier
	ds_read_b32 v19, v1
	ds_read_b32 v20, v2 offset:256
	v_mov_b32_e32 v18, s26
	v_add_co_u32_e32 v17, vcc, s23, v15
	v_addc_co_u32_e32 v18, vcc, v18, v16, vcc
	s_waitcnt lgkmcnt(1)
	global_store_dword v[17:18], v19, off offset:-256
	s_waitcnt lgkmcnt(0)
	global_store_dword v[17:18], v20, off
	s_add_u32 s6, s6, s22
	v_mov_b32_e32 v17, s20
	s_addc_u32 s7, s7, 0
	v_mov_b32_e32 v18, s21
	v_cmp_ge_i64_e32 vcc, s[6:7], v[17:18]
	v_mov_b32_e32 v19, s25
	v_add_co_u32_e64 v15, s[16:17], s24, v15
	v_addc_co_u32_e64 v16, s[16:17], v16, v19, s[16:17]
	s_cbranch_vccnz .LBB5_33
.LBB5_3:                                ; =>This Inner Loop Header: Depth=1
	v_mov_b32_e32 v18, s19
	v_add_co_u32_e32 v17, vcc, s18, v15
	v_addc_co_u32_e32 v18, vcc, v18, v16, vcc
	global_load_dword v19, v[17:18], off
	global_load_dword v20, v[17:18], off offset:256
	s_waitcnt vmcnt(1)
	ds_write_b32 v1, v19
	s_waitcnt vmcnt(0)
	ds_write_b32 v2, v20 offset:256
	s_waitcnt lgkmcnt(0)
	s_barrier
	s_and_saveexec_b64 s[16:17], s[2:3]
	s_cbranch_execz .LBB5_5
; %bb.4:                                ;   in Loop: Header=BB5_3 Depth=1
	ds_read2_b32 v[17:18], v3 offset1:1
	s_waitcnt lgkmcnt(0)
	v_add_u32_e32 v17, v18, v17
	ds_write_b32 v3, v17 offset:4
.LBB5_5:                                ;   in Loop: Header=BB5_3 Depth=1
	s_or_b64 exec, exec, s[16:17]
	s_waitcnt lgkmcnt(0)
	s_barrier
	s_and_saveexec_b64 s[16:17], s[4:5]
	s_cbranch_execz .LBB5_7
; %bb.6:                                ;   in Loop: Header=BB5_3 Depth=1
	ds_read_b32 v17, v4
	ds_read_b32 v18, v5
	s_waitcnt lgkmcnt(0)
	v_add_u32_e32 v17, v18, v17
	ds_write_b32 v5, v17
.LBB5_7:                                ;   in Loop: Header=BB5_3 Depth=1
	s_or_b64 exec, exec, s[16:17]
	s_waitcnt lgkmcnt(0)
	s_barrier
	s_and_saveexec_b64 s[16:17], s[8:9]
	s_cbranch_execz .LBB5_9
; %bb.8:                                ;   in Loop: Header=BB5_3 Depth=1
	ds_read_b32 v17, v6
	ds_read_b32 v18, v7
	s_waitcnt lgkmcnt(0)
	v_add_u32_e32 v17, v18, v17
	ds_write_b32 v7, v17
.LBB5_9:                                ;   in Loop: Header=BB5_3 Depth=1
	s_or_b64 exec, exec, s[16:17]
	s_waitcnt lgkmcnt(0)
	s_barrier
	s_and_saveexec_b64 s[16:17], s[10:11]
	s_cbranch_execz .LBB5_11
; %bb.10:                               ;   in Loop: Header=BB5_3 Depth=1
	ds_read_b32 v17, v8
	ds_read_b32 v18, v9
	s_waitcnt lgkmcnt(0)
	v_add_u32_e32 v17, v18, v17
	ds_write_b32 v9, v17
.LBB5_11:                               ;   in Loop: Header=BB5_3 Depth=1
	s_or_b64 exec, exec, s[16:17]
	s_waitcnt lgkmcnt(0)
	s_barrier
	s_and_saveexec_b64 s[16:17], s[12:13]
	s_cbranch_execz .LBB5_13
; %bb.12:                               ;   in Loop: Header=BB5_3 Depth=1
	ds_read_b32 v17, v10
	ds_read_b32 v18, v11
	s_waitcnt lgkmcnt(0)
	v_add_u32_e32 v17, v18, v17
	ds_write_b32 v11, v17
.LBB5_13:                               ;   in Loop: Header=BB5_3 Depth=1
	;; [unrolled: 12-line block ×3, first 2 shown]
	s_or_b64 exec, exec, s[16:17]
	s_waitcnt lgkmcnt(0)
	s_barrier
	s_and_saveexec_b64 s[16:17], s[0:1]
	s_cbranch_execz .LBB5_17
; %bb.16:                               ;   in Loop: Header=BB5_3 Depth=1
	ds_read2_b32 v[17:18], v14 offset0:64 offset1:130
	s_waitcnt lgkmcnt(0)
	v_add_u32_e32 v17, v18, v17
	ds_write_b32 v14, v17 offset:520
.LBB5_17:                               ;   in Loop: Header=BB5_3 Depth=1
	s_or_b64 exec, exec, s[16:17]
	s_and_saveexec_b64 s[16:17], s[0:1]
; %bb.18:                               ;   in Loop: Header=BB5_3 Depth=1
	ds_write_b32 v14, v14 offset:520
; %bb.19:                               ;   in Loop: Header=BB5_3 Depth=1
	s_or_b64 exec, exec, s[16:17]
	s_waitcnt lgkmcnt(0)
	s_barrier
	s_and_saveexec_b64 s[16:17], s[0:1]
	s_cbranch_execz .LBB5_21
; %bb.20:                               ;   in Loop: Header=BB5_3 Depth=1
	ds_read2_b32 v[17:18], v14 offset0:64 offset1:130
	s_waitcnt lgkmcnt(0)
	v_add_u32_e32 v17, v18, v17
	ds_write2_b32 v14, v18, v17 offset0:64 offset1:130
.LBB5_21:                               ;   in Loop: Header=BB5_3 Depth=1
	s_or_b64 exec, exec, s[16:17]
	s_waitcnt lgkmcnt(0)
	s_barrier
	s_and_saveexec_b64 s[16:17], s[14:15]
	s_cbranch_execz .LBB5_23
; %bb.22:                               ;   in Loop: Header=BB5_3 Depth=1
	ds_read_b32 v17, v13
	ds_read_b32 v18, v12
	s_waitcnt lgkmcnt(1)
	ds_write_b32 v12, v17
	s_waitcnt lgkmcnt(1)
	v_add_u32_e32 v17, v17, v18
	ds_write_b32 v13, v17
.LBB5_23:                               ;   in Loop: Header=BB5_3 Depth=1
	s_or_b64 exec, exec, s[16:17]
	s_waitcnt lgkmcnt(0)
	s_barrier
	s_and_saveexec_b64 s[16:17], s[12:13]
	s_cbranch_execz .LBB5_25
; %bb.24:                               ;   in Loop: Header=BB5_3 Depth=1
	ds_read_b32 v17, v11
	ds_read_b32 v18, v10
	s_waitcnt lgkmcnt(1)
	ds_write_b32 v10, v17
	s_waitcnt lgkmcnt(1)
	v_add_u32_e32 v17, v17, v18
	ds_write_b32 v11, v17
.LBB5_25:                               ;   in Loop: Header=BB5_3 Depth=1
	;; [unrolled: 14-line block ×5, first 2 shown]
	s_or_b64 exec, exec, s[16:17]
	s_waitcnt lgkmcnt(0)
	s_barrier
	s_and_saveexec_b64 s[16:17], s[2:3]
	s_cbranch_execz .LBB5_2
; %bb.32:                               ;   in Loop: Header=BB5_3 Depth=1
	ds_read2_b32 v[17:18], v0 offset1:1
	s_waitcnt lgkmcnt(0)
	v_add_u32_e32 v17, v18, v17
	ds_write2_b32 v0, v18, v17 offset1:1
	s_branch .LBB5_2
.LBB5_33:
	s_endpgm
	.section	.rodata,"a",@progbits
	.p2align	6, 0x0
	.amdhsa_kernel _Z9scan_bcaoIiLi128EEvlPT_PKS0_
		.amdhsa_group_segment_fixed_size 1024
		.amdhsa_private_segment_fixed_size 0
		.amdhsa_kernarg_size 280
		.amdhsa_user_sgpr_count 6
		.amdhsa_user_sgpr_private_segment_buffer 1
		.amdhsa_user_sgpr_dispatch_ptr 0
		.amdhsa_user_sgpr_queue_ptr 0
		.amdhsa_user_sgpr_kernarg_segment_ptr 1
		.amdhsa_user_sgpr_dispatch_id 0
		.amdhsa_user_sgpr_flat_scratch_init 0
		.amdhsa_user_sgpr_private_segment_size 0
		.amdhsa_uses_dynamic_stack 0
		.amdhsa_system_sgpr_private_segment_wavefront_offset 0
		.amdhsa_system_sgpr_workgroup_id_x 1
		.amdhsa_system_sgpr_workgroup_id_y 0
		.amdhsa_system_sgpr_workgroup_id_z 0
		.amdhsa_system_sgpr_workgroup_info 0
		.amdhsa_system_vgpr_workitem_id 0
		.amdhsa_next_free_vgpr 21
		.amdhsa_next_free_sgpr 27
		.amdhsa_reserve_vcc 1
		.amdhsa_reserve_flat_scratch 0
		.amdhsa_float_round_mode_32 0
		.amdhsa_float_round_mode_16_64 0
		.amdhsa_float_denorm_mode_32 3
		.amdhsa_float_denorm_mode_16_64 3
		.amdhsa_dx10_clamp 1
		.amdhsa_ieee_mode 1
		.amdhsa_fp16_overflow 0
		.amdhsa_exception_fp_ieee_invalid_op 0
		.amdhsa_exception_fp_denorm_src 0
		.amdhsa_exception_fp_ieee_div_zero 0
		.amdhsa_exception_fp_ieee_overflow 0
		.amdhsa_exception_fp_ieee_underflow 0
		.amdhsa_exception_fp_ieee_inexact 0
		.amdhsa_exception_int_div_zero 0
	.end_amdhsa_kernel
	.section	.text._Z9scan_bcaoIiLi128EEvlPT_PKS0_,"axG",@progbits,_Z9scan_bcaoIiLi128EEvlPT_PKS0_,comdat
.Lfunc_end5:
	.size	_Z9scan_bcaoIiLi128EEvlPT_PKS0_, .Lfunc_end5-_Z9scan_bcaoIiLi128EEvlPT_PKS0_
                                        ; -- End function
	.set _Z9scan_bcaoIiLi128EEvlPT_PKS0_.num_vgpr, 21
	.set _Z9scan_bcaoIiLi128EEvlPT_PKS0_.num_agpr, 0
	.set _Z9scan_bcaoIiLi128EEvlPT_PKS0_.numbered_sgpr, 27
	.set _Z9scan_bcaoIiLi128EEvlPT_PKS0_.num_named_barrier, 0
	.set _Z9scan_bcaoIiLi128EEvlPT_PKS0_.private_seg_size, 0
	.set _Z9scan_bcaoIiLi128EEvlPT_PKS0_.uses_vcc, 1
	.set _Z9scan_bcaoIiLi128EEvlPT_PKS0_.uses_flat_scratch, 0
	.set _Z9scan_bcaoIiLi128EEvlPT_PKS0_.has_dyn_sized_stack, 0
	.set _Z9scan_bcaoIiLi128EEvlPT_PKS0_.has_recursion, 0
	.set _Z9scan_bcaoIiLi128EEvlPT_PKS0_.has_indirect_call, 0
	.section	.AMDGPU.csdata,"",@progbits
; Kernel info:
; codeLenInByte = 1448
; TotalNumSgprs: 31
; NumVgprs: 21
; ScratchSize: 0
; MemoryBound: 0
; FloatMode: 240
; IeeeMode: 1
; LDSByteSize: 1024 bytes/workgroup (compile time only)
; SGPRBlocks: 3
; VGPRBlocks: 5
; NumSGPRsForWavesPerEU: 31
; NumVGPRsForWavesPerEU: 21
; Occupancy: 10
; WaveLimiterHint : 1
; COMPUTE_PGM_RSRC2:SCRATCH_EN: 0
; COMPUTE_PGM_RSRC2:USER_SGPR: 6
; COMPUTE_PGM_RSRC2:TRAP_HANDLER: 0
; COMPUTE_PGM_RSRC2:TGID_X_EN: 1
; COMPUTE_PGM_RSRC2:TGID_Y_EN: 0
; COMPUTE_PGM_RSRC2:TGID_Z_EN: 0
; COMPUTE_PGM_RSRC2:TIDIG_COMP_CNT: 0
	.section	.text._Z4scanIlLi128EEvlPT_PKS0_,"axG",@progbits,_Z4scanIlLi128EEvlPT_PKS0_,comdat
	.protected	_Z4scanIlLi128EEvlPT_PKS0_ ; -- Begin function _Z4scanIlLi128EEvlPT_PKS0_
	.globl	_Z4scanIlLi128EEvlPT_PKS0_
	.p2align	8
	.type	_Z4scanIlLi128EEvlPT_PKS0_,@function
_Z4scanIlLi128EEvlPT_PKS0_:             ; @_Z4scanIlLi128EEvlPT_PKS0_
; %bb.0:
	s_load_dwordx2 s[24:25], s[4:5], 0x0
	s_mov_b32 s7, 0
	v_mov_b32_e32 v1, s6
	v_mov_b32_e32 v2, s7
	s_waitcnt lgkmcnt(0)
	v_cmp_le_i64_e32 vcc, s[24:25], v[1:2]
	s_cbranch_vccnz .LBB6_35
; %bb.1:
	v_lshlrev_b32_e32 v1, 1, v0
	s_load_dwordx4 s[20:23], s[4:5], 0x8
	s_load_dword s26, s[4:5], 0x18
	v_or_b32_e32 v2, 1, v1
	v_add_u32_e32 v1, 2, v1
	v_lshlrev_b32_e32 v3, 4, v2
	v_lshlrev_b32_e32 v4, 4, v1
	v_add_u32_e32 v7, -8, v3
	v_add_u32_e32 v8, -8, v4
	s_mov_b32 s27, s7
	v_add_u32_e32 v9, v7, v3
	v_add_u32_e32 v10, v8, v4
	v_lshlrev_b32_e32 v6, 4, v0
	v_lshl_add_u32 v11, v2, 5, v9
	v_lshl_add_u32 v12, v1, 5, v10
	s_lshl_b64 s[18:19], s[6:7], 10
	s_waitcnt lgkmcnt(0)
	s_lshl_b64 s[28:29], s[26:27], 10
	v_cmp_eq_u32_e64 s[0:1], 0, v0
	v_cmp_gt_u32_e64 s[2:3], 64, v0
	v_cmp_lt_u32_e64 s[4:5], 63, v0
	v_cmp_gt_u32_e64 s[8:9], 32, v0
	v_cmp_gt_u32_e64 s[10:11], 16, v0
	;; [unrolled: 1-line block ×4, first 2 shown]
	v_lshl_add_u32 v13, v2, 6, v11
	v_lshl_add_u32 v14, v1, 6, v12
	v_cmp_gt_u32_e64 s[16:17], 2, v0
	v_mov_b32_e32 v0, s19
	v_add_co_u32_e32 v17, vcc, s18, v6
	s_add_u32 s20, s20, 8
	v_lshl_add_u32 v15, v2, 7, v13
	v_lshl_add_u32 v16, v1, 7, v14
	v_mov_b32_e32 v4, 0
	v_addc_co_u32_e32 v18, vcc, 0, v0, vcc
	s_addc_u32 s21, s21, 0
	v_mov_b32_e32 v19, s23
	s_branch .LBB6_3
.LBB6_2:                                ;   in Loop: Header=BB6_3 Depth=1
	s_or_b64 exec, exec, s[18:19]
	v_mov_b32_e32 v5, s21
	v_add_co_u32_e32 v20, vcc, s20, v17
	v_addc_co_u32_e32 v21, vcc, v5, v18, vcc
	s_waitcnt lgkmcnt(0)
	global_store_dwordx4 v[20:21], v[0:3], off offset:-8
	s_add_u32 s6, s6, s26
	v_mov_b32_e32 v0, s24
	s_addc_u32 s7, s7, 0
	v_mov_b32_e32 v1, s25
	v_cmp_ge_i64_e32 vcc, s[6:7], v[0:1]
	v_mov_b32_e32 v2, s29
	v_add_co_u32_e64 v17, s[18:19], s28, v17
	v_addc_co_u32_e64 v18, s[18:19], v18, v2, s[18:19]
	s_cbranch_vccnz .LBB6_35
.LBB6_3:                                ; =>This Inner Loop Header: Depth=1
	v_add_co_u32_e32 v0, vcc, s22, v17
	v_addc_co_u32_e32 v1, vcc, v19, v18, vcc
	global_load_dwordx4 v[0:3], v[0:1], off
	s_waitcnt vmcnt(0)
	ds_write_b128 v6, v[0:3]
	s_waitcnt lgkmcnt(0)
	s_barrier
	s_and_saveexec_b64 s[18:19], s[2:3]
	s_cbranch_execz .LBB6_5
; %bb.4:                                ;   in Loop: Header=BB6_3 Depth=1
	ds_read_b128 v[0:3], v6
	s_waitcnt lgkmcnt(0)
	v_add_co_u32_e32 v0, vcc, v2, v0
	v_addc_co_u32_e32 v1, vcc, v3, v1, vcc
	ds_write_b64 v6, v[0:1] offset:8
.LBB6_5:                                ;   in Loop: Header=BB6_3 Depth=1
	s_or_b64 exec, exec, s[18:19]
	s_waitcnt lgkmcnt(0)
	s_barrier
	s_and_saveexec_b64 s[18:19], s[8:9]
	s_cbranch_execz .LBB6_7
; %bb.6:                                ;   in Loop: Header=BB6_3 Depth=1
	ds_read_b64 v[0:1], v7
	ds_read_b64 v[2:3], v8
	s_waitcnt lgkmcnt(0)
	v_add_co_u32_e32 v0, vcc, v2, v0
	v_addc_co_u32_e32 v1, vcc, v3, v1, vcc
	ds_write_b64 v8, v[0:1]
.LBB6_7:                                ;   in Loop: Header=BB6_3 Depth=1
	s_or_b64 exec, exec, s[18:19]
	s_waitcnt lgkmcnt(0)
	s_barrier
	s_and_saveexec_b64 s[18:19], s[10:11]
	s_cbranch_execz .LBB6_9
; %bb.8:                                ;   in Loop: Header=BB6_3 Depth=1
	ds_read_b64 v[0:1], v9
	ds_read_b64 v[2:3], v10
	s_waitcnt lgkmcnt(0)
	v_add_co_u32_e32 v0, vcc, v2, v0
	v_addc_co_u32_e32 v1, vcc, v3, v1, vcc
	ds_write_b64 v10, v[0:1]
.LBB6_9:                                ;   in Loop: Header=BB6_3 Depth=1
	s_or_b64 exec, exec, s[18:19]
	s_waitcnt lgkmcnt(0)
	s_barrier
	s_and_saveexec_b64 s[18:19], s[12:13]
	s_cbranch_execz .LBB6_11
; %bb.10:                               ;   in Loop: Header=BB6_3 Depth=1
	ds_read_b64 v[0:1], v11
	ds_read_b64 v[2:3], v12
	s_waitcnt lgkmcnt(0)
	v_add_co_u32_e32 v0, vcc, v2, v0
	v_addc_co_u32_e32 v1, vcc, v3, v1, vcc
	ds_write_b64 v12, v[0:1]
.LBB6_11:                               ;   in Loop: Header=BB6_3 Depth=1
	s_or_b64 exec, exec, s[18:19]
	s_waitcnt lgkmcnt(0)
	s_barrier
	s_and_saveexec_b64 s[18:19], s[14:15]
	s_cbranch_execz .LBB6_13
; %bb.12:                               ;   in Loop: Header=BB6_3 Depth=1
	ds_read_b64 v[0:1], v13
	ds_read_b64 v[2:3], v14
	s_waitcnt lgkmcnt(0)
	v_add_co_u32_e32 v0, vcc, v2, v0
	v_addc_co_u32_e32 v1, vcc, v3, v1, vcc
	ds_write_b64 v14, v[0:1]
.LBB6_13:                               ;   in Loop: Header=BB6_3 Depth=1
	;; [unrolled: 13-line block ×3, first 2 shown]
	s_or_b64 exec, exec, s[18:19]
	s_waitcnt lgkmcnt(0)
	s_barrier
	s_and_saveexec_b64 s[18:19], s[0:1]
	s_cbranch_execz .LBB6_17
; %bb.16:                               ;   in Loop: Header=BB6_3 Depth=1
	ds_read2_b64 v[0:3], v4 offset0:63 offset1:127
	s_waitcnt lgkmcnt(0)
	v_add_co_u32_e32 v0, vcc, v2, v0
	v_addc_co_u32_e32 v1, vcc, v3, v1, vcc
	ds_write_b64 v4, v[0:1] offset:1016
.LBB6_17:                               ;   in Loop: Header=BB6_3 Depth=1
	s_or_b64 exec, exec, s[18:19]
	s_and_saveexec_b64 s[18:19], s[0:1]
; %bb.18:                               ;   in Loop: Header=BB6_3 Depth=1
	v_mov_b32_e32 v5, v4
	ds_write_b64 v4, v[4:5] offset:1016
; %bb.19:                               ;   in Loop: Header=BB6_3 Depth=1
	s_or_b64 exec, exec, s[18:19]
	s_waitcnt lgkmcnt(0)
	s_barrier
	s_and_saveexec_b64 s[18:19], s[0:1]
	s_cbranch_execz .LBB6_21
; %bb.20:                               ;   in Loop: Header=BB6_3 Depth=1
	ds_read2_b64 v[0:3], v4 offset0:63 offset1:127
	s_waitcnt lgkmcnt(0)
	v_add_co_u32_e32 v0, vcc, v2, v0
	v_addc_co_u32_e32 v1, vcc, v3, v1, vcc
	ds_write2_b64 v4, v[2:3], v[0:1] offset0:63 offset1:127
.LBB6_21:                               ;   in Loop: Header=BB6_3 Depth=1
	s_or_b64 exec, exec, s[18:19]
	s_waitcnt lgkmcnt(0)
	s_barrier
	s_and_saveexec_b64 s[18:19], s[16:17]
	s_cbranch_execz .LBB6_23
; %bb.22:                               ;   in Loop: Header=BB6_3 Depth=1
	ds_read_b64 v[0:1], v16
	ds_read_b64 v[2:3], v15
	s_waitcnt lgkmcnt(1)
	ds_write_b64 v15, v[0:1]
	s_waitcnt lgkmcnt(1)
	v_add_co_u32_e32 v0, vcc, v0, v2
	v_addc_co_u32_e32 v1, vcc, v1, v3, vcc
	ds_write_b64 v16, v[0:1]
.LBB6_23:                               ;   in Loop: Header=BB6_3 Depth=1
	s_or_b64 exec, exec, s[18:19]
	s_waitcnt lgkmcnt(0)
	s_barrier
	s_and_saveexec_b64 s[18:19], s[14:15]
	s_cbranch_execz .LBB6_25
; %bb.24:                               ;   in Loop: Header=BB6_3 Depth=1
	ds_read_b64 v[0:1], v14
	ds_read_b64 v[2:3], v13
	s_waitcnt lgkmcnt(1)
	ds_write_b64 v13, v[0:1]
	s_waitcnt lgkmcnt(1)
	v_add_co_u32_e32 v0, vcc, v0, v2
	v_addc_co_u32_e32 v1, vcc, v1, v3, vcc
	ds_write_b64 v14, v[0:1]
.LBB6_25:                               ;   in Loop: Header=BB6_3 Depth=1
	;; [unrolled: 15-line block ×5, first 2 shown]
	s_or_b64 exec, exec, s[18:19]
	s_waitcnt lgkmcnt(0)
	s_barrier
                                        ; implicit-def: $vgpr0_vgpr1
	s_and_saveexec_b64 s[18:19], s[4:5]
	s_xor_b64 s[18:19], exec, s[18:19]
; %bb.32:                               ;   in Loop: Header=BB6_3 Depth=1
	ds_read_b128 v[0:3], v6
; %bb.33:                               ;   in Loop: Header=BB6_3 Depth=1
	s_andn2_saveexec_b64 s[18:19], s[18:19]
	s_cbranch_execz .LBB6_2
; %bb.34:                               ;   in Loop: Header=BB6_3 Depth=1
	ds_read_b128 v[20:23], v6
	s_waitcnt lgkmcnt(0)
	v_add_co_u32_e32 v2, vcc, v22, v20
	v_addc_co_u32_e32 v3, vcc, v23, v21, vcc
	v_mov_b32_e32 v0, v22
	v_mov_b32_e32 v1, v23
	ds_write_b128 v6, v[0:3]
	v_mov_b32_e32 v0, v22
	v_mov_b32_e32 v1, v23
	s_branch .LBB6_2
.LBB6_35:
	s_endpgm
	.section	.rodata,"a",@progbits
	.p2align	6, 0x0
	.amdhsa_kernel _Z4scanIlLi128EEvlPT_PKS0_
		.amdhsa_group_segment_fixed_size 1024
		.amdhsa_private_segment_fixed_size 0
		.amdhsa_kernarg_size 280
		.amdhsa_user_sgpr_count 6
		.amdhsa_user_sgpr_private_segment_buffer 1
		.amdhsa_user_sgpr_dispatch_ptr 0
		.amdhsa_user_sgpr_queue_ptr 0
		.amdhsa_user_sgpr_kernarg_segment_ptr 1
		.amdhsa_user_sgpr_dispatch_id 0
		.amdhsa_user_sgpr_flat_scratch_init 0
		.amdhsa_user_sgpr_private_segment_size 0
		.amdhsa_uses_dynamic_stack 0
		.amdhsa_system_sgpr_private_segment_wavefront_offset 0
		.amdhsa_system_sgpr_workgroup_id_x 1
		.amdhsa_system_sgpr_workgroup_id_y 0
		.amdhsa_system_sgpr_workgroup_id_z 0
		.amdhsa_system_sgpr_workgroup_info 0
		.amdhsa_system_vgpr_workitem_id 0
		.amdhsa_next_free_vgpr 24
		.amdhsa_next_free_sgpr 30
		.amdhsa_reserve_vcc 1
		.amdhsa_reserve_flat_scratch 0
		.amdhsa_float_round_mode_32 0
		.amdhsa_float_round_mode_16_64 0
		.amdhsa_float_denorm_mode_32 3
		.amdhsa_float_denorm_mode_16_64 3
		.amdhsa_dx10_clamp 1
		.amdhsa_ieee_mode 1
		.amdhsa_fp16_overflow 0
		.amdhsa_exception_fp_ieee_invalid_op 0
		.amdhsa_exception_fp_denorm_src 0
		.amdhsa_exception_fp_ieee_div_zero 0
		.amdhsa_exception_fp_ieee_overflow 0
		.amdhsa_exception_fp_ieee_underflow 0
		.amdhsa_exception_fp_ieee_inexact 0
		.amdhsa_exception_int_div_zero 0
	.end_amdhsa_kernel
	.section	.text._Z4scanIlLi128EEvlPT_PKS0_,"axG",@progbits,_Z4scanIlLi128EEvlPT_PKS0_,comdat
.Lfunc_end6:
	.size	_Z4scanIlLi128EEvlPT_PKS0_, .Lfunc_end6-_Z4scanIlLi128EEvlPT_PKS0_
                                        ; -- End function
	.set _Z4scanIlLi128EEvlPT_PKS0_.num_vgpr, 24
	.set _Z4scanIlLi128EEvlPT_PKS0_.num_agpr, 0
	.set _Z4scanIlLi128EEvlPT_PKS0_.numbered_sgpr, 30
	.set _Z4scanIlLi128EEvlPT_PKS0_.num_named_barrier, 0
	.set _Z4scanIlLi128EEvlPT_PKS0_.private_seg_size, 0
	.set _Z4scanIlLi128EEvlPT_PKS0_.uses_vcc, 1
	.set _Z4scanIlLi128EEvlPT_PKS0_.uses_flat_scratch, 0
	.set _Z4scanIlLi128EEvlPT_PKS0_.has_dyn_sized_stack, 0
	.set _Z4scanIlLi128EEvlPT_PKS0_.has_recursion, 0
	.set _Z4scanIlLi128EEvlPT_PKS0_.has_indirect_call, 0
	.section	.AMDGPU.csdata,"",@progbits
; Kernel info:
; codeLenInByte = 1216
; TotalNumSgprs: 34
; NumVgprs: 24
; ScratchSize: 0
; MemoryBound: 0
; FloatMode: 240
; IeeeMode: 1
; LDSByteSize: 1024 bytes/workgroup (compile time only)
; SGPRBlocks: 4
; VGPRBlocks: 5
; NumSGPRsForWavesPerEU: 34
; NumVGPRsForWavesPerEU: 24
; Occupancy: 10
; WaveLimiterHint : 0
; COMPUTE_PGM_RSRC2:SCRATCH_EN: 0
; COMPUTE_PGM_RSRC2:USER_SGPR: 6
; COMPUTE_PGM_RSRC2:TRAP_HANDLER: 0
; COMPUTE_PGM_RSRC2:TGID_X_EN: 1
; COMPUTE_PGM_RSRC2:TGID_Y_EN: 0
; COMPUTE_PGM_RSRC2:TGID_Z_EN: 0
; COMPUTE_PGM_RSRC2:TIDIG_COMP_CNT: 0
	.section	.text._Z9scan_bcaoIlLi128EEvlPT_PKS0_,"axG",@progbits,_Z9scan_bcaoIlLi128EEvlPT_PKS0_,comdat
	.protected	_Z9scan_bcaoIlLi128EEvlPT_PKS0_ ; -- Begin function _Z9scan_bcaoIlLi128EEvlPT_PKS0_
	.globl	_Z9scan_bcaoIlLi128EEvlPT_PKS0_
	.p2align	8
	.type	_Z9scan_bcaoIlLi128EEvlPT_PKS0_,@function
_Z9scan_bcaoIlLi128EEvlPT_PKS0_:        ; @_Z9scan_bcaoIlLi128EEvlPT_PKS0_
; %bb.0:
	s_load_dwordx2 s[20:21], s[4:5], 0x0
	s_mov_b32 s7, 0
	v_mov_b32_e32 v1, s6
	v_mov_b32_e32 v2, s7
	s_waitcnt lgkmcnt(0)
	v_cmp_le_i64_e32 vcc, s[20:21], v[1:2]
	s_cbranch_vccnz .LBB7_33
; %bb.1:
	v_add_u32_e32 v1, 64, v0
	v_lshrrev_b32_e32 v1, 2, v1
	v_lshlrev_b32_e32 v16, 3, v0
	v_and_b32_e32 v1, 0x1f8, v1
	v_add_u32_e32 v3, v16, v1
	v_lshlrev_b32_e32 v1, 1, v0
	v_or_b32_e32 v13, 1, v1
	v_add_u32_e32 v1, 2, v1
	v_lshlrev_b32_e32 v7, 1, v13
	v_add_u32_e32 v8, -1, v7
	v_lshlrev_b32_e32 v9, 1, v1
	v_add_u32_e32 v10, -1, v9
	v_add_u32_e32 v12, v8, v7
	v_lshrrev_b32_e32 v5, 2, v8
	v_lshrrev_b32_e32 v6, 2, v10
	;; [unrolled: 1-line block ×3, first 2 shown]
	v_and_b32_e32 v5, 0x3f8, v5
	v_lshlrev_b32_e32 v11, 3, v10
	v_and_b32_e32 v6, 0x3ffffff8, v6
	v_add_u32_e32 v9, v10, v9
	v_and_b32_e32 v7, 0x3ffffff8, v7
	v_lshlrev_b32_e32 v14, 4, v1
	s_load_dwordx4 s[16:19], s[4:5], 0x8
	s_load_dword s22, s[4:5], 0x18
	v_lshl_add_u32 v5, v8, 3, v5
	v_add_u32_e32 v6, v11, v6
	v_lshl_add_u32 v7, v12, 3, v7
	v_add_u32_e32 v10, v11, v14
	v_lshrrev_b32_e32 v8, 2, v9
	v_lshl_add_u32 v11, v13, 2, v12
	v_lshl_add_u32 v12, v1, 2, v9
	v_and_b32_e32 v8, 0x3ffffff8, v8
	v_lshrrev_b32_e32 v9, 2, v11
	v_lshl_add_u32 v19, v1, 3, v12
	v_add_u32_e32 v8, v10, v8
	v_and_b32_e32 v9, 0x3ffffff8, v9
	v_lshl_add_u32 v17, v1, 5, v10
	v_lshrrev_b32_e32 v10, 2, v12
	v_lshl_add_u32 v18, v13, 3, v11
	v_add_u32_e32 v14, v19, v14
	v_lshrrev_b32_e32 v2, 2, v0
	v_lshrrev_b32_e32 v4, 1, v0
	v_lshl_add_u32 v9, v11, 3, v9
	v_and_b32_e32 v10, 0x3ffffff8, v10
	v_lshrrev_b32_e32 v11, 2, v18
	v_lshrrev_b32_e32 v14, 2, v14
	v_and_b32_e32 v2, 0xf8, v2
	s_mov_b32 s23, s7
	v_and_b32_e32 v15, 0x1f8, v4
	v_add_u32_e32 v10, v17, v10
	v_and_b32_e32 v11, 0x3ffffff8, v11
	v_lshl_add_u32 v17, v1, 6, v17
	v_lshl_add_u32 v13, v13, 4, v18
	v_lshlrev_b32_e32 v1, 7, v1
	v_and_b32_e32 v14, 0x3ffffff8, v14
	s_lshl_b64 s[24:25], s[6:7], 10
	v_add_u32_e32 v2, v16, v2
	v_add3_u32 v4, v16, v16, v15
	v_lshl_add_u32 v11, v18, 3, v11
	v_lshrrev_b32_e32 v12, 2, v19
	v_lshrrev_b32_e32 v18, 2, v13
	v_add3_u32 v14, v17, v1, v14
	v_mov_b32_e32 v1, s25
	v_add_co_u32_e32 v16, vcc, s24, v16
	s_waitcnt lgkmcnt(0)
	s_lshl_b64 s[24:25], s[22:23], 10
	v_and_b32_e32 v12, 0x3ffffff8, v12
	v_and_b32_e32 v18, 0x3ffffff8, v18
	s_add_u32 s23, s16, 0x200
	v_cmp_eq_u32_e64 s[0:1], 0, v0
	v_cmp_gt_u32_e64 s[2:3], 64, v0
	v_cmp_gt_u32_e64 s[4:5], 32, v0
	;; [unrolled: 1-line block ×5, first 2 shown]
	v_add_u32_e32 v12, v17, v12
	v_cmp_gt_u32_e64 s[14:15], 2, v0
	v_lshl_add_u32 v13, v13, 3, v18
	v_lshl_add_u32 v15, v0, 4, v15
	v_mov_b32_e32 v0, 0
	v_addc_co_u32_e32 v17, vcc, 0, v1, vcc
	s_addc_u32 s26, s17, 0
	s_branch .LBB7_3
.LBB7_2:                                ;   in Loop: Header=BB7_3 Depth=1
	s_or_b64 exec, exec, s[16:17]
	s_waitcnt lgkmcnt(0)
	s_barrier
	ds_read_b64 v[18:19], v2
	ds_read_b64 v[20:21], v3 offset:512
	v_mov_b32_e32 v1, s26
	v_add_co_u32_e32 v22, vcc, s23, v16
	v_addc_co_u32_e32 v23, vcc, v1, v17, vcc
	s_waitcnt lgkmcnt(1)
	global_store_dwordx2 v[22:23], v[18:19], off offset:-512
	s_waitcnt lgkmcnt(0)
	global_store_dwordx2 v[22:23], v[20:21], off
	s_add_u32 s6, s6, s22
	v_mov_b32_e32 v18, s20
	s_addc_u32 s7, s7, 0
	v_mov_b32_e32 v19, s21
	v_cmp_ge_i64_e32 vcc, s[6:7], v[18:19]
	v_mov_b32_e32 v1, s25
	v_add_co_u32_e64 v16, s[16:17], s24, v16
	v_addc_co_u32_e64 v17, s[16:17], v17, v1, s[16:17]
	s_cbranch_vccnz .LBB7_33
.LBB7_3:                                ; =>This Inner Loop Header: Depth=1
	v_mov_b32_e32 v1, s19
	v_add_co_u32_e32 v18, vcc, s18, v16
	v_addc_co_u32_e32 v19, vcc, v1, v17, vcc
	global_load_dwordx2 v[20:21], v[18:19], off
	global_load_dwordx2 v[22:23], v[18:19], off offset:512
	s_waitcnt vmcnt(1)
	ds_write_b64 v2, v[20:21]
	s_waitcnt vmcnt(0)
	ds_write_b64 v3, v[22:23] offset:512
	s_waitcnt lgkmcnt(0)
	s_barrier
	s_and_saveexec_b64 s[16:17], s[2:3]
	s_cbranch_execz .LBB7_5
; %bb.4:                                ;   in Loop: Header=BB7_3 Depth=1
	ds_read2_b64 v[18:21], v4 offset1:1
	s_waitcnt lgkmcnt(0)
	v_add_co_u32_e32 v18, vcc, v20, v18
	v_addc_co_u32_e32 v19, vcc, v21, v19, vcc
	ds_write_b64 v4, v[18:19] offset:8
.LBB7_5:                                ;   in Loop: Header=BB7_3 Depth=1
	s_or_b64 exec, exec, s[16:17]
	s_waitcnt lgkmcnt(0)
	s_barrier
	s_and_saveexec_b64 s[16:17], s[4:5]
	s_cbranch_execz .LBB7_7
; %bb.6:                                ;   in Loop: Header=BB7_3 Depth=1
	ds_read_b64 v[18:19], v5
	ds_read_b64 v[20:21], v6
	s_waitcnt lgkmcnt(0)
	v_add_co_u32_e32 v18, vcc, v20, v18
	v_addc_co_u32_e32 v19, vcc, v21, v19, vcc
	ds_write_b64 v6, v[18:19]
.LBB7_7:                                ;   in Loop: Header=BB7_3 Depth=1
	s_or_b64 exec, exec, s[16:17]
	s_waitcnt lgkmcnt(0)
	s_barrier
	s_and_saveexec_b64 s[16:17], s[8:9]
	s_cbranch_execz .LBB7_9
; %bb.8:                                ;   in Loop: Header=BB7_3 Depth=1
	ds_read_b64 v[18:19], v7
	ds_read_b64 v[20:21], v8
	s_waitcnt lgkmcnt(0)
	v_add_co_u32_e32 v18, vcc, v20, v18
	v_addc_co_u32_e32 v19, vcc, v21, v19, vcc
	ds_write_b64 v8, v[18:19]
.LBB7_9:                                ;   in Loop: Header=BB7_3 Depth=1
	s_or_b64 exec, exec, s[16:17]
	s_waitcnt lgkmcnt(0)
	s_barrier
	s_and_saveexec_b64 s[16:17], s[10:11]
	s_cbranch_execz .LBB7_11
; %bb.10:                               ;   in Loop: Header=BB7_3 Depth=1
	ds_read_b64 v[18:19], v9
	ds_read_b64 v[20:21], v10
	s_waitcnt lgkmcnt(0)
	v_add_co_u32_e32 v18, vcc, v20, v18
	v_addc_co_u32_e32 v19, vcc, v21, v19, vcc
	ds_write_b64 v10, v[18:19]
.LBB7_11:                               ;   in Loop: Header=BB7_3 Depth=1
	s_or_b64 exec, exec, s[16:17]
	s_waitcnt lgkmcnt(0)
	s_barrier
	s_and_saveexec_b64 s[16:17], s[12:13]
	s_cbranch_execz .LBB7_13
; %bb.12:                               ;   in Loop: Header=BB7_3 Depth=1
	ds_read_b64 v[18:19], v11
	ds_read_b64 v[20:21], v12
	s_waitcnt lgkmcnt(0)
	v_add_co_u32_e32 v18, vcc, v20, v18
	v_addc_co_u32_e32 v19, vcc, v21, v19, vcc
	ds_write_b64 v12, v[18:19]
.LBB7_13:                               ;   in Loop: Header=BB7_3 Depth=1
	;; [unrolled: 13-line block ×3, first 2 shown]
	s_or_b64 exec, exec, s[16:17]
	s_waitcnt lgkmcnt(0)
	s_barrier
	s_and_saveexec_b64 s[16:17], s[0:1]
	s_cbranch_execz .LBB7_17
; %bb.16:                               ;   in Loop: Header=BB7_3 Depth=1
	ds_read2_b64 v[18:21], v0 offset0:64 offset1:130
	s_waitcnt lgkmcnt(0)
	v_add_co_u32_e32 v18, vcc, v20, v18
	v_addc_co_u32_e32 v19, vcc, v21, v19, vcc
	ds_write_b64 v0, v[18:19] offset:1040
.LBB7_17:                               ;   in Loop: Header=BB7_3 Depth=1
	s_or_b64 exec, exec, s[16:17]
	s_and_saveexec_b64 s[16:17], s[0:1]
; %bb.18:                               ;   in Loop: Header=BB7_3 Depth=1
	v_mov_b32_e32 v1, v0
	ds_write_b64 v0, v[0:1] offset:1040
; %bb.19:                               ;   in Loop: Header=BB7_3 Depth=1
	s_or_b64 exec, exec, s[16:17]
	s_waitcnt lgkmcnt(0)
	s_barrier
	s_and_saveexec_b64 s[16:17], s[0:1]
	s_cbranch_execz .LBB7_21
; %bb.20:                               ;   in Loop: Header=BB7_3 Depth=1
	ds_read2_b64 v[18:21], v0 offset0:64 offset1:130
	s_waitcnt lgkmcnt(0)
	v_add_co_u32_e32 v18, vcc, v20, v18
	v_addc_co_u32_e32 v19, vcc, v21, v19, vcc
	ds_write2_b64 v0, v[20:21], v[18:19] offset0:64 offset1:130
.LBB7_21:                               ;   in Loop: Header=BB7_3 Depth=1
	s_or_b64 exec, exec, s[16:17]
	s_waitcnt lgkmcnt(0)
	s_barrier
	s_and_saveexec_b64 s[16:17], s[14:15]
	s_cbranch_execz .LBB7_23
; %bb.22:                               ;   in Loop: Header=BB7_3 Depth=1
	ds_read_b64 v[18:19], v14
	ds_read_b64 v[20:21], v13
	s_waitcnt lgkmcnt(1)
	ds_write_b64 v13, v[18:19]
	s_waitcnt lgkmcnt(1)
	v_add_co_u32_e32 v18, vcc, v18, v20
	v_addc_co_u32_e32 v19, vcc, v19, v21, vcc
	ds_write_b64 v14, v[18:19]
.LBB7_23:                               ;   in Loop: Header=BB7_3 Depth=1
	s_or_b64 exec, exec, s[16:17]
	s_waitcnt lgkmcnt(0)
	s_barrier
	s_and_saveexec_b64 s[16:17], s[12:13]
	s_cbranch_execz .LBB7_25
; %bb.24:                               ;   in Loop: Header=BB7_3 Depth=1
	ds_read_b64 v[18:19], v12
	ds_read_b64 v[20:21], v11
	s_waitcnt lgkmcnt(1)
	ds_write_b64 v11, v[18:19]
	s_waitcnt lgkmcnt(1)
	v_add_co_u32_e32 v18, vcc, v18, v20
	v_addc_co_u32_e32 v19, vcc, v19, v21, vcc
	ds_write_b64 v12, v[18:19]
.LBB7_25:                               ;   in Loop: Header=BB7_3 Depth=1
	s_or_b64 exec, exec, s[16:17]
	s_waitcnt lgkmcnt(0)
	s_barrier
	s_and_saveexec_b64 s[16:17], s[10:11]
	s_cbranch_execz .LBB7_27
; %bb.26:                               ;   in Loop: Header=BB7_3 Depth=1
	ds_read_b64 v[18:19], v10
	ds_read_b64 v[20:21], v9
	s_waitcnt lgkmcnt(1)
	ds_write_b64 v9, v[18:19]
	s_waitcnt lgkmcnt(1)
	v_add_co_u32_e32 v18, vcc, v18, v20
	v_addc_co_u32_e32 v19, vcc, v19, v21, vcc
	ds_write_b64 v10, v[18:19]
.LBB7_27:                               ;   in Loop: Header=BB7_3 Depth=1
	s_or_b64 exec, exec, s[16:17]
	s_waitcnt lgkmcnt(0)
	s_barrier
	s_and_saveexec_b64 s[16:17], s[8:9]
	s_cbranch_execz .LBB7_29
; %bb.28:                               ;   in Loop: Header=BB7_3 Depth=1
	ds_read_b64 v[18:19], v8
	ds_read_b64 v[20:21], v7
	s_waitcnt lgkmcnt(1)
	ds_write_b64 v7, v[18:19]
	s_waitcnt lgkmcnt(1)
	v_add_co_u32_e32 v18, vcc, v18, v20
	v_addc_co_u32_e32 v19, vcc, v19, v21, vcc
	ds_write_b64 v8, v[18:19]
.LBB7_29:                               ;   in Loop: Header=BB7_3 Depth=1
	s_or_b64 exec, exec, s[16:17]
	s_waitcnt lgkmcnt(0)
	s_barrier
	s_and_saveexec_b64 s[16:17], s[4:5]
	s_cbranch_execz .LBB7_31
; %bb.30:                               ;   in Loop: Header=BB7_3 Depth=1
	ds_read_b64 v[18:19], v6
	ds_read_b64 v[20:21], v5
	s_waitcnt lgkmcnt(1)
	ds_write_b64 v5, v[18:19]
	s_waitcnt lgkmcnt(1)
	v_add_co_u32_e32 v18, vcc, v18, v20
	v_addc_co_u32_e32 v19, vcc, v19, v21, vcc
	ds_write_b64 v6, v[18:19]
.LBB7_31:                               ;   in Loop: Header=BB7_3 Depth=1
	s_or_b64 exec, exec, s[16:17]
	s_waitcnt lgkmcnt(0)
	s_barrier
	s_and_saveexec_b64 s[16:17], s[2:3]
	s_cbranch_execz .LBB7_2
; %bb.32:                               ;   in Loop: Header=BB7_3 Depth=1
	ds_read2_b64 v[18:21], v15 offset1:1
	s_waitcnt lgkmcnt(0)
	v_add_co_u32_e32 v18, vcc, v20, v18
	v_addc_co_u32_e32 v19, vcc, v21, v19, vcc
	ds_write2_b64 v15, v[20:21], v[18:19] offset1:1
	s_branch .LBB7_2
.LBB7_33:
	s_endpgm
	.section	.rodata,"a",@progbits
	.p2align	6, 0x0
	.amdhsa_kernel _Z9scan_bcaoIlLi128EEvlPT_PKS0_
		.amdhsa_group_segment_fixed_size 2048
		.amdhsa_private_segment_fixed_size 0
		.amdhsa_kernarg_size 280
		.amdhsa_user_sgpr_count 6
		.amdhsa_user_sgpr_private_segment_buffer 1
		.amdhsa_user_sgpr_dispatch_ptr 0
		.amdhsa_user_sgpr_queue_ptr 0
		.amdhsa_user_sgpr_kernarg_segment_ptr 1
		.amdhsa_user_sgpr_dispatch_id 0
		.amdhsa_user_sgpr_flat_scratch_init 0
		.amdhsa_user_sgpr_private_segment_size 0
		.amdhsa_uses_dynamic_stack 0
		.amdhsa_system_sgpr_private_segment_wavefront_offset 0
		.amdhsa_system_sgpr_workgroup_id_x 1
		.amdhsa_system_sgpr_workgroup_id_y 0
		.amdhsa_system_sgpr_workgroup_id_z 0
		.amdhsa_system_sgpr_workgroup_info 0
		.amdhsa_system_vgpr_workitem_id 0
		.amdhsa_next_free_vgpr 29
		.amdhsa_next_free_sgpr 61
		.amdhsa_reserve_vcc 1
		.amdhsa_reserve_flat_scratch 0
		.amdhsa_float_round_mode_32 0
		.amdhsa_float_round_mode_16_64 0
		.amdhsa_float_denorm_mode_32 3
		.amdhsa_float_denorm_mode_16_64 3
		.amdhsa_dx10_clamp 1
		.amdhsa_ieee_mode 1
		.amdhsa_fp16_overflow 0
		.amdhsa_exception_fp_ieee_invalid_op 0
		.amdhsa_exception_fp_denorm_src 0
		.amdhsa_exception_fp_ieee_div_zero 0
		.amdhsa_exception_fp_ieee_overflow 0
		.amdhsa_exception_fp_ieee_underflow 0
		.amdhsa_exception_fp_ieee_inexact 0
		.amdhsa_exception_int_div_zero 0
	.end_amdhsa_kernel
	.section	.text._Z9scan_bcaoIlLi128EEvlPT_PKS0_,"axG",@progbits,_Z9scan_bcaoIlLi128EEvlPT_PKS0_,comdat
.Lfunc_end7:
	.size	_Z9scan_bcaoIlLi128EEvlPT_PKS0_, .Lfunc_end7-_Z9scan_bcaoIlLi128EEvlPT_PKS0_
                                        ; -- End function
	.set _Z9scan_bcaoIlLi128EEvlPT_PKS0_.num_vgpr, 24
	.set _Z9scan_bcaoIlLi128EEvlPT_PKS0_.num_agpr, 0
	.set _Z9scan_bcaoIlLi128EEvlPT_PKS0_.numbered_sgpr, 27
	.set _Z9scan_bcaoIlLi128EEvlPT_PKS0_.num_named_barrier, 0
	.set _Z9scan_bcaoIlLi128EEvlPT_PKS0_.private_seg_size, 0
	.set _Z9scan_bcaoIlLi128EEvlPT_PKS0_.uses_vcc, 1
	.set _Z9scan_bcaoIlLi128EEvlPT_PKS0_.uses_flat_scratch, 0
	.set _Z9scan_bcaoIlLi128EEvlPT_PKS0_.has_dyn_sized_stack, 0
	.set _Z9scan_bcaoIlLi128EEvlPT_PKS0_.has_recursion, 0
	.set _Z9scan_bcaoIlLi128EEvlPT_PKS0_.has_indirect_call, 0
	.section	.AMDGPU.csdata,"",@progbits
; Kernel info:
; codeLenInByte = 1512
; TotalNumSgprs: 31
; NumVgprs: 24
; ScratchSize: 0
; MemoryBound: 0
; FloatMode: 240
; IeeeMode: 1
; LDSByteSize: 2048 bytes/workgroup (compile time only)
; SGPRBlocks: 8
; VGPRBlocks: 7
; NumSGPRsForWavesPerEU: 65
; NumVGPRsForWavesPerEU: 29
; Occupancy: 8
; WaveLimiterHint : 1
; COMPUTE_PGM_RSRC2:SCRATCH_EN: 0
; COMPUTE_PGM_RSRC2:USER_SGPR: 6
; COMPUTE_PGM_RSRC2:TRAP_HANDLER: 0
; COMPUTE_PGM_RSRC2:TGID_X_EN: 1
; COMPUTE_PGM_RSRC2:TGID_Y_EN: 0
; COMPUTE_PGM_RSRC2:TGID_Z_EN: 0
; COMPUTE_PGM_RSRC2:TIDIG_COMP_CNT: 0
	.section	.text._Z4scanIcLi256EEvlPT_PKS0_,"axG",@progbits,_Z4scanIcLi256EEvlPT_PKS0_,comdat
	.protected	_Z4scanIcLi256EEvlPT_PKS0_ ; -- Begin function _Z4scanIcLi256EEvlPT_PKS0_
	.globl	_Z4scanIcLi256EEvlPT_PKS0_
	.p2align	8
	.type	_Z4scanIcLi256EEvlPT_PKS0_,@function
_Z4scanIcLi256EEvlPT_PKS0_:             ; @_Z4scanIcLi256EEvlPT_PKS0_
; %bb.0:
	s_load_dwordx2 s[24:25], s[4:5], 0x0
	s_mov_b32 s7, 0
	v_mov_b32_e32 v1, s6
	v_mov_b32_e32 v2, s7
	s_waitcnt lgkmcnt(0)
	v_cmp_le_i64_e32 vcc, s[24:25], v[1:2]
	s_cbranch_vccnz .LBB8_39
; %bb.1:
	v_lshlrev_b32_e32 v1, 1, v0
	v_or_b32_e32 v13, 1, v1
	v_add_u32_e32 v14, 2, v1
	v_lshlrev_b32_e32 v5, 1, v13
	v_lshlrev_b32_e32 v6, 1, v14
	s_load_dwordx4 s[20:23], s[4:5], 0x8
	s_load_dword s26, s[4:5], 0x18
	v_add_u32_e32 v3, -1, v5
	v_add_u32_e32 v4, -1, v6
	v_add_u32_e32 v5, v3, v5
	v_add_u32_e32 v6, v4, v6
	v_lshl_add_u32 v7, v13, 2, v5
	v_lshl_add_u32 v8, v14, 2, v6
	;; [unrolled: 1-line block ×4, first 2 shown]
	s_mov_b32 s27, s7
	s_movk_i32 s2, 0x80
	s_movk_i32 s4, 0x7f
	v_lshl_add_u32 v11, v13, 4, v9
	v_lshl_add_u32 v12, v14, 4, v10
	s_lshl_b64 s[28:29], s[6:7], 8
	v_cmp_eq_u32_e64 s[0:1], 0, v0
	v_cmp_gt_u32_e64 s[2:3], s2, v0
	v_cmp_lt_u32_e64 s[4:5], s4, v0
	v_cmp_gt_u32_e64 s[8:9], 64, v0
	v_cmp_gt_u32_e64 s[10:11], 32, v0
	;; [unrolled: 1-line block ×6, first 2 shown]
	v_lshl_add_u32 v0, v13, 5, v11
	v_lshl_add_u32 v13, v14, 5, v12
	v_mov_b32_e32 v15, s29
	v_add_co_u32_e32 v14, vcc, s28, v1
	s_waitcnt lgkmcnt(0)
	s_lshl_b64 s[28:29], s[26:27], 8
	s_add_u32 s27, s20, 1
	v_mov_b32_e32 v2, 0
	v_addc_co_u32_e32 v15, vcc, 0, v15, vcc
	s_addc_u32 s30, s21, 0
	v_mov_b32_e32 v16, s23
	s_branch .LBB8_3
.LBB8_2:                                ;   in Loop: Header=BB8_3 Depth=1
	s_or_b64 exec, exec, s[20:21]
	v_mov_b32_e32 v20, s30
	v_add_co_u32_e32 v19, vcc, s27, v14
	v_lshlrev_b16_e32 v18, 8, v18
	v_addc_co_u32_e32 v20, vcc, v20, v15, vcc
	v_or_b32_sdwa v17, v17, v18 dst_sel:DWORD dst_unused:UNUSED_PAD src0_sel:BYTE_0 src1_sel:DWORD
	global_store_short v[19:20], v17, off offset:-1
	s_add_u32 s6, s6, s26
	v_mov_b32_e32 v17, s24
	s_addc_u32 s7, s7, 0
	v_mov_b32_e32 v18, s25
	v_cmp_ge_i64_e32 vcc, s[6:7], v[17:18]
	v_mov_b32_e32 v19, s29
	v_add_co_u32_e64 v14, s[20:21], s28, v14
	v_addc_co_u32_e64 v15, s[20:21], v15, v19, s[20:21]
	s_cbranch_vccnz .LBB8_39
.LBB8_3:                                ; =>This Inner Loop Header: Depth=1
	v_add_co_u32_e32 v17, vcc, s22, v14
	v_addc_co_u32_e32 v18, vcc, v16, v15, vcc
	global_load_ushort v17, v[17:18], off
	s_waitcnt vmcnt(0)
	ds_write_b16 v1, v17
	s_waitcnt lgkmcnt(0)
	s_barrier
	s_and_saveexec_b64 s[20:21], s[2:3]
	s_cbranch_execz .LBB8_5
; %bb.4:                                ;   in Loop: Header=BB8_3 Depth=1
	ds_read_u16 v17, v1
	s_waitcnt lgkmcnt(0)
	v_add_u16_sdwa v17, v17, v17 dst_sel:DWORD dst_unused:UNUSED_PAD src0_sel:BYTE_1 src1_sel:DWORD
	ds_write_b8 v1, v17 offset:1
.LBB8_5:                                ;   in Loop: Header=BB8_3 Depth=1
	s_or_b64 exec, exec, s[20:21]
	s_waitcnt lgkmcnt(0)
	s_barrier
	s_and_saveexec_b64 s[20:21], s[8:9]
	s_cbranch_execz .LBB8_7
; %bb.6:                                ;   in Loop: Header=BB8_3 Depth=1
	ds_read_u8 v17, v3
	ds_read_u8 v18, v4
	s_waitcnt lgkmcnt(0)
	v_add_u16_e32 v17, v18, v17
	ds_write_b8 v4, v17
.LBB8_7:                                ;   in Loop: Header=BB8_3 Depth=1
	s_or_b64 exec, exec, s[20:21]
	s_waitcnt lgkmcnt(0)
	s_barrier
	s_and_saveexec_b64 s[20:21], s[10:11]
	s_cbranch_execz .LBB8_9
; %bb.8:                                ;   in Loop: Header=BB8_3 Depth=1
	ds_read_u8 v17, v5
	ds_read_u8 v18, v6
	s_waitcnt lgkmcnt(0)
	v_add_u16_e32 v17, v18, v17
	ds_write_b8 v6, v17
.LBB8_9:                                ;   in Loop: Header=BB8_3 Depth=1
	s_or_b64 exec, exec, s[20:21]
	s_waitcnt lgkmcnt(0)
	s_barrier
	s_and_saveexec_b64 s[20:21], s[12:13]
	s_cbranch_execz .LBB8_11
; %bb.10:                               ;   in Loop: Header=BB8_3 Depth=1
	ds_read_u8 v17, v7
	ds_read_u8 v18, v8
	s_waitcnt lgkmcnt(0)
	v_add_u16_e32 v17, v18, v17
	ds_write_b8 v8, v17
.LBB8_11:                               ;   in Loop: Header=BB8_3 Depth=1
	s_or_b64 exec, exec, s[20:21]
	s_waitcnt lgkmcnt(0)
	s_barrier
	s_and_saveexec_b64 s[20:21], s[14:15]
	s_cbranch_execz .LBB8_13
; %bb.12:                               ;   in Loop: Header=BB8_3 Depth=1
	ds_read_u8 v17, v9
	ds_read_u8 v18, v10
	s_waitcnt lgkmcnt(0)
	v_add_u16_e32 v17, v18, v17
	ds_write_b8 v10, v17
.LBB8_13:                               ;   in Loop: Header=BB8_3 Depth=1
	;; [unrolled: 12-line block ×4, first 2 shown]
	s_or_b64 exec, exec, s[20:21]
	s_waitcnt lgkmcnt(0)
	s_barrier
	s_and_saveexec_b64 s[20:21], s[0:1]
	s_cbranch_execz .LBB8_19
; %bb.18:                               ;   in Loop: Header=BB8_3 Depth=1
	ds_read_u8 v17, v2 offset:127
	ds_read_u8 v18, v2 offset:255
	s_waitcnt lgkmcnt(0)
	v_add_u32_e32 v17, v18, v17
	ds_write_b8 v2, v17 offset:255
.LBB8_19:                               ;   in Loop: Header=BB8_3 Depth=1
	s_or_b64 exec, exec, s[20:21]
	s_and_saveexec_b64 s[20:21], s[0:1]
; %bb.20:                               ;   in Loop: Header=BB8_3 Depth=1
	ds_write_b8 v2, v2 offset:255
; %bb.21:                               ;   in Loop: Header=BB8_3 Depth=1
	s_or_b64 exec, exec, s[20:21]
	s_waitcnt lgkmcnt(0)
	s_barrier
	s_and_saveexec_b64 s[20:21], s[0:1]
	s_cbranch_execz .LBB8_23
; %bb.22:                               ;   in Loop: Header=BB8_3 Depth=1
	ds_read_u8 v17, v2 offset:255
	ds_read_u8 v18, v2 offset:127
	s_waitcnt lgkmcnt(1)
	ds_write_b8 v2, v17 offset:127
	s_waitcnt lgkmcnt(1)
	v_add_u32_e32 v17, v17, v18
	ds_write_b8 v2, v17 offset:255
.LBB8_23:                               ;   in Loop: Header=BB8_3 Depth=1
	s_or_b64 exec, exec, s[20:21]
	s_waitcnt lgkmcnt(0)
	s_barrier
	s_and_saveexec_b64 s[20:21], s[18:19]
	s_cbranch_execz .LBB8_25
; %bb.24:                               ;   in Loop: Header=BB8_3 Depth=1
	ds_read_u8 v17, v13
	ds_read_u8 v18, v0
	s_waitcnt lgkmcnt(1)
	ds_write_b8 v0, v17
	s_waitcnt lgkmcnt(1)
	v_add_u16_e32 v17, v17, v18
	ds_write_b8 v13, v17
.LBB8_25:                               ;   in Loop: Header=BB8_3 Depth=1
	s_or_b64 exec, exec, s[20:21]
	s_waitcnt lgkmcnt(0)
	s_barrier
	s_and_saveexec_b64 s[20:21], s[16:17]
	s_cbranch_execz .LBB8_27
; %bb.26:                               ;   in Loop: Header=BB8_3 Depth=1
	ds_read_u8 v17, v12
	ds_read_u8 v18, v11
	s_waitcnt lgkmcnt(1)
	ds_write_b8 v11, v17
	s_waitcnt lgkmcnt(1)
	v_add_u16_e32 v17, v17, v18
	ds_write_b8 v12, v17
.LBB8_27:                               ;   in Loop: Header=BB8_3 Depth=1
	;; [unrolled: 14-line block ×6, first 2 shown]
	s_or_b64 exec, exec, s[20:21]
	s_waitcnt lgkmcnt(0)
	s_barrier
                                        ; implicit-def: $vgpr17
                                        ; implicit-def: $vgpr18
	s_and_saveexec_b64 s[20:21], s[4:5]
	s_xor_b64 s[20:21], exec, s[20:21]
	s_cbranch_execz .LBB8_37
; %bb.36:                               ;   in Loop: Header=BB8_3 Depth=1
	ds_read_u16 v17, v1
	s_waitcnt lgkmcnt(0)
	v_lshrrev_b16_e32 v18, 8, v17
.LBB8_37:                               ;   in Loop: Header=BB8_3 Depth=1
	s_andn2_saveexec_b64 s[20:21], s[20:21]
	s_cbranch_execz .LBB8_2
; %bb.38:                               ;   in Loop: Header=BB8_3 Depth=1
	ds_read_u16 v18, v1
	s_waitcnt lgkmcnt(0)
	v_lshrrev_b16_e32 v17, 8, v18
	v_add_u16_e32 v18, v17, v18
	v_lshlrev_b16_e32 v19, 8, v18
	v_or_b32_e32 v19, v17, v19
	ds_write_b16 v1, v19
	s_branch .LBB8_2
.LBB8_39:
	s_endpgm
	.section	.rodata,"a",@progbits
	.p2align	6, 0x0
	.amdhsa_kernel _Z4scanIcLi256EEvlPT_PKS0_
		.amdhsa_group_segment_fixed_size 256
		.amdhsa_private_segment_fixed_size 0
		.amdhsa_kernarg_size 280
		.amdhsa_user_sgpr_count 6
		.amdhsa_user_sgpr_private_segment_buffer 1
		.amdhsa_user_sgpr_dispatch_ptr 0
		.amdhsa_user_sgpr_queue_ptr 0
		.amdhsa_user_sgpr_kernarg_segment_ptr 1
		.amdhsa_user_sgpr_dispatch_id 0
		.amdhsa_user_sgpr_flat_scratch_init 0
		.amdhsa_user_sgpr_private_segment_size 0
		.amdhsa_uses_dynamic_stack 0
		.amdhsa_system_sgpr_private_segment_wavefront_offset 0
		.amdhsa_system_sgpr_workgroup_id_x 1
		.amdhsa_system_sgpr_workgroup_id_y 0
		.amdhsa_system_sgpr_workgroup_id_z 0
		.amdhsa_system_sgpr_workgroup_info 0
		.amdhsa_system_vgpr_workitem_id 0
		.amdhsa_next_free_vgpr 21
		.amdhsa_next_free_sgpr 31
		.amdhsa_reserve_vcc 1
		.amdhsa_reserve_flat_scratch 0
		.amdhsa_float_round_mode_32 0
		.amdhsa_float_round_mode_16_64 0
		.amdhsa_float_denorm_mode_32 3
		.amdhsa_float_denorm_mode_16_64 3
		.amdhsa_dx10_clamp 1
		.amdhsa_ieee_mode 1
		.amdhsa_fp16_overflow 0
		.amdhsa_exception_fp_ieee_invalid_op 0
		.amdhsa_exception_fp_denorm_src 0
		.amdhsa_exception_fp_ieee_div_zero 0
		.amdhsa_exception_fp_ieee_overflow 0
		.amdhsa_exception_fp_ieee_underflow 0
		.amdhsa_exception_fp_ieee_inexact 0
		.amdhsa_exception_int_div_zero 0
	.end_amdhsa_kernel
	.section	.text._Z4scanIcLi256EEvlPT_PKS0_,"axG",@progbits,_Z4scanIcLi256EEvlPT_PKS0_,comdat
.Lfunc_end8:
	.size	_Z4scanIcLi256EEvlPT_PKS0_, .Lfunc_end8-_Z4scanIcLi256EEvlPT_PKS0_
                                        ; -- End function
	.set _Z4scanIcLi256EEvlPT_PKS0_.num_vgpr, 21
	.set _Z4scanIcLi256EEvlPT_PKS0_.num_agpr, 0
	.set _Z4scanIcLi256EEvlPT_PKS0_.numbered_sgpr, 31
	.set _Z4scanIcLi256EEvlPT_PKS0_.num_named_barrier, 0
	.set _Z4scanIcLi256EEvlPT_PKS0_.private_seg_size, 0
	.set _Z4scanIcLi256EEvlPT_PKS0_.uses_vcc, 1
	.set _Z4scanIcLi256EEvlPT_PKS0_.uses_flat_scratch, 0
	.set _Z4scanIcLi256EEvlPT_PKS0_.has_dyn_sized_stack, 0
	.set _Z4scanIcLi256EEvlPT_PKS0_.has_recursion, 0
	.set _Z4scanIcLi256EEvlPT_PKS0_.has_indirect_call, 0
	.section	.AMDGPU.csdata,"",@progbits
; Kernel info:
; codeLenInByte = 1348
; TotalNumSgprs: 35
; NumVgprs: 21
; ScratchSize: 0
; MemoryBound: 0
; FloatMode: 240
; IeeeMode: 1
; LDSByteSize: 256 bytes/workgroup (compile time only)
; SGPRBlocks: 4
; VGPRBlocks: 5
; NumSGPRsForWavesPerEU: 35
; NumVGPRsForWavesPerEU: 21
; Occupancy: 10
; WaveLimiterHint : 0
; COMPUTE_PGM_RSRC2:SCRATCH_EN: 0
; COMPUTE_PGM_RSRC2:USER_SGPR: 6
; COMPUTE_PGM_RSRC2:TRAP_HANDLER: 0
; COMPUTE_PGM_RSRC2:TGID_X_EN: 1
; COMPUTE_PGM_RSRC2:TGID_Y_EN: 0
; COMPUTE_PGM_RSRC2:TGID_Z_EN: 0
; COMPUTE_PGM_RSRC2:TIDIG_COMP_CNT: 0
	.section	.text._Z9scan_bcaoIcLi256EEvlPT_PKS0_,"axG",@progbits,_Z9scan_bcaoIcLi256EEvlPT_PKS0_,comdat
	.protected	_Z9scan_bcaoIcLi256EEvlPT_PKS0_ ; -- Begin function _Z9scan_bcaoIcLi256EEvlPT_PKS0_
	.globl	_Z9scan_bcaoIcLi256EEvlPT_PKS0_
	.p2align	8
	.type	_Z9scan_bcaoIcLi256EEvlPT_PKS0_,@function
_Z9scan_bcaoIcLi256EEvlPT_PKS0_:        ; @_Z9scan_bcaoIcLi256EEvlPT_PKS0_
; %bb.0:
	s_load_dwordx2 s[24:25], s[4:5], 0x0
	s_mov_b32 s7, 0
	v_mov_b32_e32 v1, s6
	v_mov_b32_e32 v2, s7
	s_waitcnt lgkmcnt(0)
	v_cmp_le_i64_e32 vcc, s[24:25], v[1:2]
	s_cbranch_vccnz .LBB9_37
; %bb.1:
	v_lshlrev_b32_e32 v2, 1, v0
	v_or_b32_e32 v12, 1, v2
	v_add_u32_e32 v13, 2, v2
	v_lshlrev_b32_e32 v4, 1, v12
	v_add_u32_e32 v5, -1, v4
	v_lshlrev_b32_e32 v6, 1, v13
	v_add_u32_e32 v7, -1, v6
	v_add_u32_e32 v10, v5, v4
	s_load_dwordx4 s[20:23], s[4:5], 0x8
	s_load_dword s26, s[4:5], 0x18
	v_add_u32_e32 v11, v7, v6
	v_lshl_add_u32 v15, v12, 2, v10
	v_lshrrev_b32_e32 v8, 5, v5
	v_lshrrev_b32_e32 v9, 5, v7
	;; [unrolled: 1-line block ×3, first 2 shown]
	v_lshl_add_u32 v18, v13, 2, v11
	v_lshl_add_u32 v22, v12, 3, v15
	v_lshrrev_b32_e32 v20, 5, v15
	v_add_u32_e32 v4, v5, v8
	v_lshrrev_b32_e32 v21, 5, v18
	v_add_u32_e32 v5, v7, v9
	v_lshl_add_u32 v23, v13, 3, v18
	v_add_u32_e32 v7, v11, v14
	v_lshl_add_u32 v14, v12, 4, v22
	v_add_u32_e32 v8, v15, v20
	v_add_u32_e32 v9, v18, v21
	v_lshl_add_u32 v15, v13, 4, v23
	v_lshrrev_b32_e32 v18, 5, v14
	v_add_u32_e32 v1, 0x80, v0
	s_mov_b32 s27, s7
	v_lshl_add_u32 v20, v12, 5, v14
	v_add_u32_e32 v12, v14, v18
	v_lshrrev_b32_e32 v14, 5, v15
	v_lshl_add_u32 v18, v13, 5, v15
	s_movk_i32 s2, 0x80
	v_lshrrev_b32_e32 v16, 5, v0
	v_lshrrev_b32_e32 v17, 5, v1
	;; [unrolled: 1-line block ×3, first 2 shown]
	v_add_u32_e32 v13, v15, v14
	v_lshrrev_b32_e32 v15, 5, v18
	s_lshl_b64 s[18:19], s[6:7], 8
	s_waitcnt lgkmcnt(0)
	s_lshl_b64 s[28:29], s[26:27], 8
	v_cmp_eq_u32_e64 s[0:1], 0, v0
	v_cmp_gt_u32_e64 s[2:3], s2, v0
	v_lshrrev_b32_e32 v3, 4, v0
	v_add_u32_e32 v19, v0, v0
	v_cmp_gt_u32_e64 s[4:5], 64, v0
	v_cmp_gt_u32_e64 s[8:9], 32, v0
	;; [unrolled: 1-line block ×4, first 2 shown]
	v_add_u32_e32 v6, v10, v6
	v_lshrrev_b32_e32 v10, 5, v22
	v_lshrrev_b32_e32 v11, 5, v23
	v_cmp_gt_u32_e64 s[14:15], 4, v0
	v_cmp_gt_u32_e64 s[16:17], 2, v0
	v_lshrrev_b32_e32 v14, 5, v20
	v_add_u32_e32 v15, v18, v15
	v_mov_b32_e32 v18, s19
	v_add_u32_e32 v16, v0, v16
	v_add_u32_e32 v17, v0, v17
	v_add_co_u32_e32 v0, vcc, s18, v0
	s_add_u32 s20, s20, 0x80
	v_mov_b32_e32 v1, 0
	v_add_u32_e32 v10, v22, v10
	v_add_u32_e32 v11, v23, v11
	;; [unrolled: 1-line block ×3, first 2 shown]
	v_addc_co_u32_e32 v18, vcc, 0, v18, vcc
	s_addc_u32 s21, s21, 0
	v_add_u32_e32 v19, v19, v3
	s_branch .LBB9_3
.LBB9_2:                                ;   in Loop: Header=BB9_3 Depth=1
	s_or_b64 exec, exec, s[18:19]
	s_waitcnt lgkmcnt(0)
	s_barrier
	ds_read_u8 v22, v16
	ds_read_u8 v23, v17 offset:128
	v_mov_b32_e32 v21, s21
	v_add_co_u32_e32 v20, vcc, s20, v0
	v_addc_co_u32_e32 v21, vcc, v21, v18, vcc
	s_waitcnt lgkmcnt(1)
	global_store_byte v[20:21], v22, off offset:-128
	s_waitcnt lgkmcnt(0)
	global_store_byte v[20:21], v23, off
	s_add_u32 s6, s6, s26
	v_mov_b32_e32 v20, s24
	s_addc_u32 s7, s7, 0
	v_mov_b32_e32 v21, s25
	v_cmp_ge_i64_e32 vcc, s[6:7], v[20:21]
	v_mov_b32_e32 v22, s29
	v_add_co_u32_e64 v0, s[18:19], s28, v0
	v_addc_co_u32_e64 v18, s[18:19], v18, v22, s[18:19]
	s_cbranch_vccnz .LBB9_37
.LBB9_3:                                ; =>This Inner Loop Header: Depth=1
	v_mov_b32_e32 v21, s23
	v_add_co_u32_e32 v20, vcc, s22, v0
	v_addc_co_u32_e32 v21, vcc, v21, v18, vcc
	global_load_ubyte v22, v[20:21], off
	global_load_ubyte v23, v[20:21], off offset:128
	s_waitcnt vmcnt(1)
	ds_write_b8 v16, v22
	s_waitcnt vmcnt(0)
	ds_write_b8 v17, v23 offset:128
	s_waitcnt lgkmcnt(0)
	s_barrier
	s_and_saveexec_b64 s[18:19], s[2:3]
	s_cbranch_execz .LBB9_5
; %bb.4:                                ;   in Loop: Header=BB9_3 Depth=1
	ds_read_u8 v20, v19
	ds_read_u8 v21, v19 offset:1
	s_waitcnt lgkmcnt(0)
	v_add_u16_e32 v20, v21, v20
	ds_write_b8 v19, v20 offset:1
.LBB9_5:                                ;   in Loop: Header=BB9_3 Depth=1
	s_or_b64 exec, exec, s[18:19]
	s_waitcnt lgkmcnt(0)
	s_barrier
	s_and_saveexec_b64 s[18:19], s[4:5]
	s_cbranch_execz .LBB9_7
; %bb.6:                                ;   in Loop: Header=BB9_3 Depth=1
	ds_read_u8 v20, v4
	ds_read_u8 v21, v5
	s_waitcnt lgkmcnt(0)
	v_add_u16_e32 v20, v21, v20
	ds_write_b8 v5, v20
.LBB9_7:                                ;   in Loop: Header=BB9_3 Depth=1
	s_or_b64 exec, exec, s[18:19]
	s_waitcnt lgkmcnt(0)
	s_barrier
	s_and_saveexec_b64 s[18:19], s[8:9]
	s_cbranch_execz .LBB9_9
; %bb.8:                                ;   in Loop: Header=BB9_3 Depth=1
	ds_read_u8 v20, v6
	ds_read_u8 v21, v7
	s_waitcnt lgkmcnt(0)
	v_add_u16_e32 v20, v21, v20
	ds_write_b8 v7, v20
.LBB9_9:                                ;   in Loop: Header=BB9_3 Depth=1
	s_or_b64 exec, exec, s[18:19]
	s_waitcnt lgkmcnt(0)
	s_barrier
	s_and_saveexec_b64 s[18:19], s[10:11]
	s_cbranch_execz .LBB9_11
; %bb.10:                               ;   in Loop: Header=BB9_3 Depth=1
	ds_read_u8 v20, v8
	ds_read_u8 v21, v9
	s_waitcnt lgkmcnt(0)
	v_add_u16_e32 v20, v21, v20
	ds_write_b8 v9, v20
.LBB9_11:                               ;   in Loop: Header=BB9_3 Depth=1
	s_or_b64 exec, exec, s[18:19]
	s_waitcnt lgkmcnt(0)
	s_barrier
	s_and_saveexec_b64 s[18:19], s[12:13]
	s_cbranch_execz .LBB9_13
; %bb.12:                               ;   in Loop: Header=BB9_3 Depth=1
	ds_read_u8 v20, v10
	ds_read_u8 v21, v11
	s_waitcnt lgkmcnt(0)
	v_add_u16_e32 v20, v21, v20
	ds_write_b8 v11, v20
.LBB9_13:                               ;   in Loop: Header=BB9_3 Depth=1
	;; [unrolled: 12-line block ×4, first 2 shown]
	s_or_b64 exec, exec, s[18:19]
	s_waitcnt lgkmcnt(0)
	s_barrier
	s_and_saveexec_b64 s[18:19], s[0:1]
	s_cbranch_execz .LBB9_19
; %bb.18:                               ;   in Loop: Header=BB9_3 Depth=1
	ds_read_u8 v20, v1 offset:130
	ds_read_u8 v21, v1 offset:262
	s_waitcnt lgkmcnt(0)
	v_add_u32_e32 v20, v21, v20
	ds_write_b8 v1, v20 offset:262
.LBB9_19:                               ;   in Loop: Header=BB9_3 Depth=1
	s_or_b64 exec, exec, s[18:19]
	s_and_saveexec_b64 s[18:19], s[0:1]
; %bb.20:                               ;   in Loop: Header=BB9_3 Depth=1
	ds_write_b8 v1, v1 offset:262
; %bb.21:                               ;   in Loop: Header=BB9_3 Depth=1
	s_or_b64 exec, exec, s[18:19]
	s_waitcnt lgkmcnt(0)
	s_barrier
	s_and_saveexec_b64 s[18:19], s[0:1]
	s_cbranch_execz .LBB9_23
; %bb.22:                               ;   in Loop: Header=BB9_3 Depth=1
	ds_read_u8 v20, v1 offset:262
	ds_read_u8 v21, v1 offset:130
	s_waitcnt lgkmcnt(1)
	ds_write_b8 v1, v20 offset:130
	s_waitcnt lgkmcnt(1)
	v_add_u32_e32 v20, v20, v21
	ds_write_b8 v1, v20 offset:262
.LBB9_23:                               ;   in Loop: Header=BB9_3 Depth=1
	s_or_b64 exec, exec, s[18:19]
	s_waitcnt lgkmcnt(0)
	s_barrier
	s_and_saveexec_b64 s[18:19], s[16:17]
	s_cbranch_execz .LBB9_25
; %bb.24:                               ;   in Loop: Header=BB9_3 Depth=1
	ds_read_u8 v20, v15
	ds_read_u8 v21, v14
	s_waitcnt lgkmcnt(1)
	ds_write_b8 v14, v20
	s_waitcnt lgkmcnt(1)
	v_add_u16_e32 v20, v20, v21
	ds_write_b8 v15, v20
.LBB9_25:                               ;   in Loop: Header=BB9_3 Depth=1
	s_or_b64 exec, exec, s[18:19]
	s_waitcnt lgkmcnt(0)
	s_barrier
	s_and_saveexec_b64 s[18:19], s[14:15]
	s_cbranch_execz .LBB9_27
; %bb.26:                               ;   in Loop: Header=BB9_3 Depth=1
	ds_read_u8 v20, v13
	ds_read_u8 v21, v12
	s_waitcnt lgkmcnt(1)
	ds_write_b8 v12, v20
	s_waitcnt lgkmcnt(1)
	v_add_u16_e32 v20, v20, v21
	ds_write_b8 v13, v20
.LBB9_27:                               ;   in Loop: Header=BB9_3 Depth=1
	;; [unrolled: 14-line block ×6, first 2 shown]
	s_or_b64 exec, exec, s[18:19]
	s_waitcnt lgkmcnt(0)
	s_barrier
	s_and_saveexec_b64 s[18:19], s[2:3]
	s_cbranch_execz .LBB9_2
; %bb.36:                               ;   in Loop: Header=BB9_3 Depth=1
	v_add_u32_e32 v20, v2, v3
	ds_read_u8 v21, v20 offset:1
	ds_read_u8 v22, v20
	s_waitcnt lgkmcnt(1)
	ds_write_b8 v20, v21
	s_waitcnt lgkmcnt(1)
	v_add_u16_e32 v21, v21, v22
	ds_write_b8 v20, v21 offset:1
	s_branch .LBB9_2
.LBB9_37:
	s_endpgm
	.section	.rodata,"a",@progbits
	.p2align	6, 0x0
	.amdhsa_kernel _Z9scan_bcaoIcLi256EEvlPT_PKS0_
		.amdhsa_group_segment_fixed_size 512
		.amdhsa_private_segment_fixed_size 0
		.amdhsa_kernarg_size 280
		.amdhsa_user_sgpr_count 6
		.amdhsa_user_sgpr_private_segment_buffer 1
		.amdhsa_user_sgpr_dispatch_ptr 0
		.amdhsa_user_sgpr_queue_ptr 0
		.amdhsa_user_sgpr_kernarg_segment_ptr 1
		.amdhsa_user_sgpr_dispatch_id 0
		.amdhsa_user_sgpr_flat_scratch_init 0
		.amdhsa_user_sgpr_private_segment_size 0
		.amdhsa_uses_dynamic_stack 0
		.amdhsa_system_sgpr_private_segment_wavefront_offset 0
		.amdhsa_system_sgpr_workgroup_id_x 1
		.amdhsa_system_sgpr_workgroup_id_y 0
		.amdhsa_system_sgpr_workgroup_id_z 0
		.amdhsa_system_sgpr_workgroup_info 0
		.amdhsa_system_vgpr_workitem_id 0
		.amdhsa_next_free_vgpr 24
		.amdhsa_next_free_sgpr 30
		.amdhsa_reserve_vcc 1
		.amdhsa_reserve_flat_scratch 0
		.amdhsa_float_round_mode_32 0
		.amdhsa_float_round_mode_16_64 0
		.amdhsa_float_denorm_mode_32 3
		.amdhsa_float_denorm_mode_16_64 3
		.amdhsa_dx10_clamp 1
		.amdhsa_ieee_mode 1
		.amdhsa_fp16_overflow 0
		.amdhsa_exception_fp_ieee_invalid_op 0
		.amdhsa_exception_fp_denorm_src 0
		.amdhsa_exception_fp_ieee_div_zero 0
		.amdhsa_exception_fp_ieee_overflow 0
		.amdhsa_exception_fp_ieee_underflow 0
		.amdhsa_exception_fp_ieee_inexact 0
		.amdhsa_exception_int_div_zero 0
	.end_amdhsa_kernel
	.section	.text._Z9scan_bcaoIcLi256EEvlPT_PKS0_,"axG",@progbits,_Z9scan_bcaoIcLi256EEvlPT_PKS0_,comdat
.Lfunc_end9:
	.size	_Z9scan_bcaoIcLi256EEvlPT_PKS0_, .Lfunc_end9-_Z9scan_bcaoIcLi256EEvlPT_PKS0_
                                        ; -- End function
	.set _Z9scan_bcaoIcLi256EEvlPT_PKS0_.num_vgpr, 24
	.set _Z9scan_bcaoIcLi256EEvlPT_PKS0_.num_agpr, 0
	.set _Z9scan_bcaoIcLi256EEvlPT_PKS0_.numbered_sgpr, 30
	.set _Z9scan_bcaoIcLi256EEvlPT_PKS0_.num_named_barrier, 0
	.set _Z9scan_bcaoIcLi256EEvlPT_PKS0_.private_seg_size, 0
	.set _Z9scan_bcaoIcLi256EEvlPT_PKS0_.uses_vcc, 1
	.set _Z9scan_bcaoIcLi256EEvlPT_PKS0_.uses_flat_scratch, 0
	.set _Z9scan_bcaoIcLi256EEvlPT_PKS0_.has_dyn_sized_stack, 0
	.set _Z9scan_bcaoIcLi256EEvlPT_PKS0_.has_recursion, 0
	.set _Z9scan_bcaoIcLi256EEvlPT_PKS0_.has_indirect_call, 0
	.section	.AMDGPU.csdata,"",@progbits
; Kernel info:
; codeLenInByte = 1508
; TotalNumSgprs: 34
; NumVgprs: 24
; ScratchSize: 0
; MemoryBound: 0
; FloatMode: 240
; IeeeMode: 1
; LDSByteSize: 512 bytes/workgroup (compile time only)
; SGPRBlocks: 4
; VGPRBlocks: 5
; NumSGPRsForWavesPerEU: 34
; NumVGPRsForWavesPerEU: 24
; Occupancy: 10
; WaveLimiterHint : 1
; COMPUTE_PGM_RSRC2:SCRATCH_EN: 0
; COMPUTE_PGM_RSRC2:USER_SGPR: 6
; COMPUTE_PGM_RSRC2:TRAP_HANDLER: 0
; COMPUTE_PGM_RSRC2:TGID_X_EN: 1
; COMPUTE_PGM_RSRC2:TGID_Y_EN: 0
; COMPUTE_PGM_RSRC2:TGID_Z_EN: 0
; COMPUTE_PGM_RSRC2:TIDIG_COMP_CNT: 0
	.section	.text._Z4scanIsLi256EEvlPT_PKS0_,"axG",@progbits,_Z4scanIsLi256EEvlPT_PKS0_,comdat
	.protected	_Z4scanIsLi256EEvlPT_PKS0_ ; -- Begin function _Z4scanIsLi256EEvlPT_PKS0_
	.globl	_Z4scanIsLi256EEvlPT_PKS0_
	.p2align	8
	.type	_Z4scanIsLi256EEvlPT_PKS0_,@function
_Z4scanIsLi256EEvlPT_PKS0_:             ; @_Z4scanIsLi256EEvlPT_PKS0_
; %bb.0:
	s_load_dwordx2 s[22:23], s[4:5], 0x0
	s_mov_b32 s7, 0
	v_mov_b32_e32 v1, s6
	v_mov_b32_e32 v2, s7
	s_waitcnt lgkmcnt(0)
	v_cmp_le_i64_e32 vcc, s[22:23], v[1:2]
	s_cbranch_vccnz .LBB10_39
; %bb.1:
	v_lshlrev_b32_e32 v2, 1, v0
	v_or_b32_e32 v12, 1, v2
	v_add_u32_e32 v13, 2, v2
	v_lshlrev_b32_e32 v4, 2, v12
	v_lshlrev_b32_e32 v5, 2, v13
	s_load_dwordx4 s[24:27], s[4:5], 0x8
	s_load_dword s28, s[4:5], 0x18
	v_add_u32_e32 v2, -2, v4
	v_add_u32_e32 v3, -2, v5
	v_add_u32_e32 v4, v2, v4
	v_add_u32_e32 v5, v3, v5
	v_lshl_add_u32 v6, v12, 3, v4
	v_lshl_add_u32 v7, v13, 3, v5
	v_lshlrev_b32_e32 v1, 2, v0
	v_lshl_add_u32 v8, v12, 4, v6
	v_lshl_add_u32 v9, v13, 4, v7
	s_lshl_b64 s[20:21], s[6:7], 9
	s_mov_b32 s29, s7
	s_movk_i32 s2, 0x80
	s_movk_i32 s4, 0x7f
	v_lshl_add_u32 v10, v12, 5, v8
	v_lshl_add_u32 v11, v13, 5, v9
	v_mov_b32_e32 v15, s21
	v_add_co_u32_e32 v14, vcc, s20, v1
	v_cmp_eq_u32_e64 s[0:1], 0, v0
	v_cmp_gt_u32_e64 s[2:3], s2, v0
	v_cmp_lt_u32_e64 s[4:5], s4, v0
	v_cmp_gt_u32_e64 s[8:9], 64, v0
	v_cmp_gt_u32_e64 s[10:11], 32, v0
	;; [unrolled: 1-line block ×6, first 2 shown]
	v_lshl_add_u32 v0, v12, 6, v10
	v_lshl_add_u32 v12, v13, 6, v11
	v_mov_b32_e32 v13, 0
	v_addc_co_u32_e32 v15, vcc, 0, v15, vcc
	s_waitcnt lgkmcnt(0)
	s_lshl_b64 s[30:31], s[28:29], 9
	v_mov_b32_e32 v16, s27
	s_branch .LBB10_3
.LBB10_2:                               ;   in Loop: Header=BB10_3 Depth=1
	s_or_b64 exec, exec, s[20:21]
	v_mov_b32_e32 v19, s25
	v_add_co_u32_e32 v18, vcc, s24, v14
	v_addc_co_u32_e32 v19, vcc, v19, v15, vcc
	s_waitcnt lgkmcnt(0)
	global_store_dword v[18:19], v17, off
	s_add_u32 s6, s6, s28
	v_mov_b32_e32 v17, s22
	s_addc_u32 s7, s7, 0
	v_mov_b32_e32 v18, s23
	v_cmp_ge_i64_e32 vcc, s[6:7], v[17:18]
	v_mov_b32_e32 v19, s31
	v_add_co_u32_e64 v14, s[20:21], s30, v14
	v_addc_co_u32_e64 v15, s[20:21], v15, v19, s[20:21]
	s_cbranch_vccnz .LBB10_39
.LBB10_3:                               ; =>This Inner Loop Header: Depth=1
	v_add_co_u32_e32 v17, vcc, s26, v14
	v_addc_co_u32_e32 v18, vcc, v16, v15, vcc
	global_load_dword v17, v[17:18], off
	s_waitcnt vmcnt(0)
	ds_write_b32 v1, v17
	s_waitcnt lgkmcnt(0)
	s_barrier
	s_and_saveexec_b64 s[20:21], s[2:3]
	s_cbranch_execz .LBB10_5
; %bb.4:                                ;   in Loop: Header=BB10_3 Depth=1
	ds_read_b32 v17, v1
	s_waitcnt lgkmcnt(0)
	v_add_u16_sdwa v17, v17, v17 dst_sel:DWORD dst_unused:UNUSED_PAD src0_sel:WORD_1 src1_sel:DWORD
	ds_write_b16 v1, v17 offset:2
.LBB10_5:                               ;   in Loop: Header=BB10_3 Depth=1
	s_or_b64 exec, exec, s[20:21]
	s_waitcnt lgkmcnt(0)
	s_barrier
	s_and_saveexec_b64 s[20:21], s[8:9]
	s_cbranch_execz .LBB10_7
; %bb.6:                                ;   in Loop: Header=BB10_3 Depth=1
	ds_read_u16 v17, v2
	ds_read_u16 v18, v3
	s_waitcnt lgkmcnt(0)
	v_add_u16_e32 v17, v18, v17
	ds_write_b16 v3, v17
.LBB10_7:                               ;   in Loop: Header=BB10_3 Depth=1
	s_or_b64 exec, exec, s[20:21]
	s_waitcnt lgkmcnt(0)
	s_barrier
	s_and_saveexec_b64 s[20:21], s[10:11]
	s_cbranch_execz .LBB10_9
; %bb.8:                                ;   in Loop: Header=BB10_3 Depth=1
	ds_read_u16 v17, v4
	ds_read_u16 v18, v5
	s_waitcnt lgkmcnt(0)
	v_add_u16_e32 v17, v18, v17
	ds_write_b16 v5, v17
.LBB10_9:                               ;   in Loop: Header=BB10_3 Depth=1
	s_or_b64 exec, exec, s[20:21]
	s_waitcnt lgkmcnt(0)
	s_barrier
	s_and_saveexec_b64 s[20:21], s[12:13]
	s_cbranch_execz .LBB10_11
; %bb.10:                               ;   in Loop: Header=BB10_3 Depth=1
	ds_read_u16 v17, v6
	ds_read_u16 v18, v7
	s_waitcnt lgkmcnt(0)
	v_add_u16_e32 v17, v18, v17
	ds_write_b16 v7, v17
.LBB10_11:                              ;   in Loop: Header=BB10_3 Depth=1
	s_or_b64 exec, exec, s[20:21]
	s_waitcnt lgkmcnt(0)
	s_barrier
	s_and_saveexec_b64 s[20:21], s[14:15]
	s_cbranch_execz .LBB10_13
; %bb.12:                               ;   in Loop: Header=BB10_3 Depth=1
	ds_read_u16 v17, v8
	ds_read_u16 v18, v9
	s_waitcnt lgkmcnt(0)
	v_add_u16_e32 v17, v18, v17
	ds_write_b16 v9, v17
.LBB10_13:                              ;   in Loop: Header=BB10_3 Depth=1
	s_or_b64 exec, exec, s[20:21]
	s_waitcnt lgkmcnt(0)
	s_barrier
	s_and_saveexec_b64 s[20:21], s[16:17]
	s_cbranch_execz .LBB10_15
; %bb.14:                               ;   in Loop: Header=BB10_3 Depth=1
	ds_read_u16 v17, v10
	ds_read_u16 v18, v11
	s_waitcnt lgkmcnt(0)
	v_add_u16_e32 v17, v18, v17
	ds_write_b16 v11, v17
.LBB10_15:                              ;   in Loop: Header=BB10_3 Depth=1
	s_or_b64 exec, exec, s[20:21]
	s_waitcnt lgkmcnt(0)
	s_barrier
	s_and_saveexec_b64 s[20:21], s[18:19]
	s_cbranch_execz .LBB10_17
; %bb.16:                               ;   in Loop: Header=BB10_3 Depth=1
	ds_read_u16 v17, v0
	ds_read_u16 v18, v12
	s_waitcnt lgkmcnt(0)
	v_add_u16_e32 v17, v18, v17
	ds_write_b16 v12, v17
.LBB10_17:                              ;   in Loop: Header=BB10_3 Depth=1
	s_or_b64 exec, exec, s[20:21]
	s_waitcnt lgkmcnt(0)
	s_barrier
	s_and_saveexec_b64 s[20:21], s[0:1]
	s_cbranch_execz .LBB10_19
; %bb.18:                               ;   in Loop: Header=BB10_3 Depth=1
	ds_read_u16 v17, v13 offset:254
	ds_read_u16 v18, v13 offset:510
	s_waitcnt lgkmcnt(0)
	v_add_u32_e32 v17, v18, v17
	ds_write_b16 v13, v17 offset:510
.LBB10_19:                              ;   in Loop: Header=BB10_3 Depth=1
	s_or_b64 exec, exec, s[20:21]
	s_and_saveexec_b64 s[20:21], s[0:1]
; %bb.20:                               ;   in Loop: Header=BB10_3 Depth=1
	ds_write_b16 v13, v13 offset:510
; %bb.21:                               ;   in Loop: Header=BB10_3 Depth=1
	s_or_b64 exec, exec, s[20:21]
	s_waitcnt lgkmcnt(0)
	s_barrier
	s_and_saveexec_b64 s[20:21], s[0:1]
	s_cbranch_execz .LBB10_23
; %bb.22:                               ;   in Loop: Header=BB10_3 Depth=1
	ds_read_u16 v17, v13 offset:510
	ds_read_u16 v18, v13 offset:254
	s_waitcnt lgkmcnt(1)
	ds_write_b16 v13, v17 offset:254
	s_waitcnt lgkmcnt(1)
	v_add_u32_e32 v17, v17, v18
	ds_write_b16 v13, v17 offset:510
.LBB10_23:                              ;   in Loop: Header=BB10_3 Depth=1
	s_or_b64 exec, exec, s[20:21]
	s_waitcnt lgkmcnt(0)
	s_barrier
	s_and_saveexec_b64 s[20:21], s[18:19]
	s_cbranch_execz .LBB10_25
; %bb.24:                               ;   in Loop: Header=BB10_3 Depth=1
	ds_read_u16 v17, v12
	ds_read_u16 v18, v0
	s_waitcnt lgkmcnt(1)
	ds_write_b16 v0, v17
	s_waitcnt lgkmcnt(1)
	v_add_u16_e32 v17, v17, v18
	ds_write_b16 v12, v17
.LBB10_25:                              ;   in Loop: Header=BB10_3 Depth=1
	s_or_b64 exec, exec, s[20:21]
	s_waitcnt lgkmcnt(0)
	s_barrier
	s_and_saveexec_b64 s[20:21], s[16:17]
	s_cbranch_execz .LBB10_27
; %bb.26:                               ;   in Loop: Header=BB10_3 Depth=1
	ds_read_u16 v17, v11
	ds_read_u16 v18, v10
	s_waitcnt lgkmcnt(1)
	ds_write_b16 v10, v17
	s_waitcnt lgkmcnt(1)
	v_add_u16_e32 v17, v17, v18
	ds_write_b16 v11, v17
.LBB10_27:                              ;   in Loop: Header=BB10_3 Depth=1
	;; [unrolled: 14-line block ×6, first 2 shown]
	s_or_b64 exec, exec, s[20:21]
	s_waitcnt lgkmcnt(0)
	s_barrier
                                        ; implicit-def: $vgpr17
	s_and_saveexec_b64 s[20:21], s[4:5]
	s_xor_b64 s[20:21], exec, s[20:21]
; %bb.36:                               ;   in Loop: Header=BB10_3 Depth=1
	ds_read_b32 v17, v1
; %bb.37:                               ;   in Loop: Header=BB10_3 Depth=1
	s_andn2_saveexec_b64 s[20:21], s[20:21]
	s_cbranch_execz .LBB10_2
; %bb.38:                               ;   in Loop: Header=BB10_3 Depth=1
	s_waitcnt lgkmcnt(0)
	ds_read_b32 v17, v1
	s_waitcnt lgkmcnt(0)
	v_add_u16_sdwa v18, v17, v17 dst_sel:DWORD dst_unused:UNUSED_PAD src0_sel:WORD_1 src1_sel:DWORD
	v_alignbit_b32 v17, v18, v17, 16
	ds_write_b32 v1, v17
	s_branch .LBB10_2
.LBB10_39:
	s_endpgm
	.section	.rodata,"a",@progbits
	.p2align	6, 0x0
	.amdhsa_kernel _Z4scanIsLi256EEvlPT_PKS0_
		.amdhsa_group_segment_fixed_size 512
		.amdhsa_private_segment_fixed_size 0
		.amdhsa_kernarg_size 280
		.amdhsa_user_sgpr_count 6
		.amdhsa_user_sgpr_private_segment_buffer 1
		.amdhsa_user_sgpr_dispatch_ptr 0
		.amdhsa_user_sgpr_queue_ptr 0
		.amdhsa_user_sgpr_kernarg_segment_ptr 1
		.amdhsa_user_sgpr_dispatch_id 0
		.amdhsa_user_sgpr_flat_scratch_init 0
		.amdhsa_user_sgpr_private_segment_size 0
		.amdhsa_uses_dynamic_stack 0
		.amdhsa_system_sgpr_private_segment_wavefront_offset 0
		.amdhsa_system_sgpr_workgroup_id_x 1
		.amdhsa_system_sgpr_workgroup_id_y 0
		.amdhsa_system_sgpr_workgroup_id_z 0
		.amdhsa_system_sgpr_workgroup_info 0
		.amdhsa_system_vgpr_workitem_id 0
		.amdhsa_next_free_vgpr 20
		.amdhsa_next_free_sgpr 32
		.amdhsa_reserve_vcc 1
		.amdhsa_reserve_flat_scratch 0
		.amdhsa_float_round_mode_32 0
		.amdhsa_float_round_mode_16_64 0
		.amdhsa_float_denorm_mode_32 3
		.amdhsa_float_denorm_mode_16_64 3
		.amdhsa_dx10_clamp 1
		.amdhsa_ieee_mode 1
		.amdhsa_fp16_overflow 0
		.amdhsa_exception_fp_ieee_invalid_op 0
		.amdhsa_exception_fp_denorm_src 0
		.amdhsa_exception_fp_ieee_div_zero 0
		.amdhsa_exception_fp_ieee_overflow 0
		.amdhsa_exception_fp_ieee_underflow 0
		.amdhsa_exception_fp_ieee_inexact 0
		.amdhsa_exception_int_div_zero 0
	.end_amdhsa_kernel
	.section	.text._Z4scanIsLi256EEvlPT_PKS0_,"axG",@progbits,_Z4scanIsLi256EEvlPT_PKS0_,comdat
.Lfunc_end10:
	.size	_Z4scanIsLi256EEvlPT_PKS0_, .Lfunc_end10-_Z4scanIsLi256EEvlPT_PKS0_
                                        ; -- End function
	.set _Z4scanIsLi256EEvlPT_PKS0_.num_vgpr, 20
	.set _Z4scanIsLi256EEvlPT_PKS0_.num_agpr, 0
	.set _Z4scanIsLi256EEvlPT_PKS0_.numbered_sgpr, 32
	.set _Z4scanIsLi256EEvlPT_PKS0_.num_named_barrier, 0
	.set _Z4scanIsLi256EEvlPT_PKS0_.private_seg_size, 0
	.set _Z4scanIsLi256EEvlPT_PKS0_.uses_vcc, 1
	.set _Z4scanIsLi256EEvlPT_PKS0_.uses_flat_scratch, 0
	.set _Z4scanIsLi256EEvlPT_PKS0_.has_dyn_sized_stack, 0
	.set _Z4scanIsLi256EEvlPT_PKS0_.has_recursion, 0
	.set _Z4scanIsLi256EEvlPT_PKS0_.has_indirect_call, 0
	.section	.AMDGPU.csdata,"",@progbits
; Kernel info:
; codeLenInByte = 1328
; TotalNumSgprs: 36
; NumVgprs: 20
; ScratchSize: 0
; MemoryBound: 0
; FloatMode: 240
; IeeeMode: 1
; LDSByteSize: 512 bytes/workgroup (compile time only)
; SGPRBlocks: 4
; VGPRBlocks: 4
; NumSGPRsForWavesPerEU: 36
; NumVGPRsForWavesPerEU: 20
; Occupancy: 10
; WaveLimiterHint : 0
; COMPUTE_PGM_RSRC2:SCRATCH_EN: 0
; COMPUTE_PGM_RSRC2:USER_SGPR: 6
; COMPUTE_PGM_RSRC2:TRAP_HANDLER: 0
; COMPUTE_PGM_RSRC2:TGID_X_EN: 1
; COMPUTE_PGM_RSRC2:TGID_Y_EN: 0
; COMPUTE_PGM_RSRC2:TGID_Z_EN: 0
; COMPUTE_PGM_RSRC2:TIDIG_COMP_CNT: 0
	.section	.text._Z9scan_bcaoIsLi256EEvlPT_PKS0_,"axG",@progbits,_Z9scan_bcaoIsLi256EEvlPT_PKS0_,comdat
	.protected	_Z9scan_bcaoIsLi256EEvlPT_PKS0_ ; -- Begin function _Z9scan_bcaoIsLi256EEvlPT_PKS0_
	.globl	_Z9scan_bcaoIsLi256EEvlPT_PKS0_
	.p2align	8
	.type	_Z9scan_bcaoIsLi256EEvlPT_PKS0_,@function
_Z9scan_bcaoIsLi256EEvlPT_PKS0_:        ; @_Z9scan_bcaoIsLi256EEvlPT_PKS0_
; %bb.0:
	s_load_dwordx2 s[24:25], s[4:5], 0x0
	s_mov_b32 s7, 0
	v_mov_b32_e32 v1, s6
	v_mov_b32_e32 v2, s7
	s_waitcnt lgkmcnt(0)
	v_cmp_le_i64_e32 vcc, s[24:25], v[1:2]
	s_cbranch_vccnz .LBB11_37
; %bb.1:
	v_lshlrev_b32_e32 v17, 1, v0
	v_or_b32_e32 v13, 1, v17
	v_lshlrev_b32_e32 v6, 1, v13
	v_add_u32_e32 v15, 2, v17
	v_add_u32_e32 v7, -1, v6
	v_lshlrev_b32_e32 v8, 1, v15
	v_add_u32_e32 v11, v7, v6
	v_add_u32_e32 v9, -1, v8
	v_lshrrev_b32_e32 v4, 4, v7
	v_lshrrev_b32_e32 v6, 4, v11
	v_and_b32_e32 v4, 0xfe, v4
	v_lshrrev_b32_e32 v5, 4, v9
	v_add_u32_e32 v8, v9, v8
	v_and_b32_e32 v6, 0xffffffe, v6
	v_lshl_add_u32 v4, v7, 1, v4
	v_lshlrev_b32_e32 v10, 1, v9
	v_and_b32_e32 v5, 0xffffffe, v5
	v_lshl_add_u32 v6, v11, 1, v6
	v_lshlrev_b32_e32 v9, 2, v15
	v_lshrrev_b32_e32 v7, 4, v8
	v_lshl_add_u32 v11, v13, 2, v11
	v_add_u32_e32 v5, v10, v5
	v_add_u32_e32 v10, v10, v9
	v_and_b32_e32 v7, 0xffffffe, v7
	v_lshlrev_b32_e32 v14, 3, v15
	v_lshl_add_u32 v19, v13, 3, v11
	v_add_u32_e32 v7, v10, v7
	v_add_u32_e32 v12, v8, v9
	;; [unrolled: 1-line block ×3, first 2 shown]
	v_lshrrev_b32_e32 v10, 4, v19
	v_lshrrev_b32_e32 v8, 4, v11
	;; [unrolled: 1-line block ×3, first 2 shown]
	v_and_b32_e32 v10, 0xffffffe, v10
	v_and_b32_e32 v8, 0xffffffe, v8
	;; [unrolled: 1-line block ×3, first 2 shown]
	v_add_u32_e32 v12, v12, v14
	v_lshl_add_u32 v10, v19, 1, v10
	v_lshlrev_b32_e32 v14, 4, v15
	v_lshl_add_u32 v19, v13, 4, v19
	v_lshl_add_u32 v8, v11, 1, v8
	v_add_u32_e32 v9, v18, v9
	v_add_u32_e32 v18, v18, v14
	v_lshrrev_b32_e32 v11, 4, v12
	v_add_u32_e32 v14, v12, v14
	v_lshrrev_b32_e32 v12, 4, v19
	v_and_b32_e32 v12, 0xffffffe, v12
	v_lshl_add_u32 v13, v13, 5, v19
	s_load_dwordx4 s[20:23], s[4:5], 0x8
	s_load_dword s26, s[4:5], 0x18
	v_lshl_add_u32 v12, v19, 1, v12
	v_lshrrev_b32_e32 v19, 4, v13
	v_and_b32_e32 v19, 0xffffffe, v19
	v_and_b32_e32 v11, 0xffffffe, v11
	v_lshl_add_u32 v13, v13, 1, v19
	v_lshlrev_b32_e32 v19, 5, v15
	v_add_u32_e32 v2, 0x80, v0
	v_add_u32_e32 v11, v18, v11
	;; [unrolled: 1-line block ×4, first 2 shown]
	v_lshrrev_b32_e32 v1, 4, v0
	v_lshrrev_b32_e32 v2, 4, v2
	s_mov_b32 s27, s7
	v_lshrrev_b32_e32 v3, 3, v0
	v_lshrrev_b32_e32 v14, 4, v14
	v_lshrrev_b32_e32 v19, 4, v19
	v_and_b32_e32 v1, 62, v1
	v_and_b32_e32 v2, 0x7e, v2
	;; [unrolled: 1-line block ×4, first 2 shown]
	v_lshlrev_b32_e32 v15, 6, v15
	v_and_b32_e32 v19, 0xffffffe, v19
	s_lshl_b64 s[18:19], s[6:7], 9
	s_waitcnt lgkmcnt(0)
	s_lshl_b64 s[28:29], s[26:27], 9
	s_movk_i32 s2, 0x80
	v_add_u32_e32 v1, v17, v1
	v_add_u32_e32 v2, v17, v2
	v_add3_u32 v3, v17, v17, v16
	v_add_u32_e32 v14, v18, v14
	v_add3_u32 v15, v18, v15, v19
	v_mov_b32_e32 v18, s19
	v_add_co_u32_e32 v17, vcc, s18, v17
	s_add_u32 s20, s20, 0x100
	v_cmp_eq_u32_e64 s[0:1], 0, v0
	v_cmp_gt_u32_e64 s[2:3], s2, v0
	v_cmp_gt_u32_e64 s[4:5], 64, v0
	;; [unrolled: 1-line block ×7, first 2 shown]
	v_lshl_add_u32 v0, v0, 2, v16
	v_mov_b32_e32 v16, 0
	v_addc_co_u32_e32 v18, vcc, 0, v18, vcc
	s_addc_u32 s21, s21, 0
	s_branch .LBB11_3
.LBB11_2:                               ;   in Loop: Header=BB11_3 Depth=1
	s_or_b64 exec, exec, s[18:19]
	s_waitcnt lgkmcnt(0)
	s_barrier
	ds_read_u16 v21, v1
	ds_read_u16 v22, v2 offset:256
	v_mov_b32_e32 v20, s21
	v_add_co_u32_e32 v19, vcc, s20, v17
	v_addc_co_u32_e32 v20, vcc, v20, v18, vcc
	s_waitcnt lgkmcnt(1)
	global_store_short v[19:20], v21, off offset:-256
	s_waitcnt lgkmcnt(0)
	global_store_short v[19:20], v22, off
	s_add_u32 s6, s6, s26
	v_mov_b32_e32 v19, s24
	s_addc_u32 s7, s7, 0
	v_mov_b32_e32 v20, s25
	v_cmp_ge_i64_e32 vcc, s[6:7], v[19:20]
	v_mov_b32_e32 v21, s29
	v_add_co_u32_e64 v17, s[18:19], s28, v17
	v_addc_co_u32_e64 v18, s[18:19], v18, v21, s[18:19]
	s_cbranch_vccnz .LBB11_37
.LBB11_3:                               ; =>This Inner Loop Header: Depth=1
	v_mov_b32_e32 v20, s23
	v_add_co_u32_e32 v19, vcc, s22, v17
	v_addc_co_u32_e32 v20, vcc, v20, v18, vcc
	global_load_ushort v21, v[19:20], off
	global_load_ushort v22, v[19:20], off offset:256
	s_waitcnt vmcnt(1)
	ds_write_b16 v1, v21
	s_waitcnt vmcnt(0)
	ds_write_b16 v2, v22 offset:256
	s_waitcnt lgkmcnt(0)
	s_barrier
	s_and_saveexec_b64 s[18:19], s[2:3]
	s_cbranch_execz .LBB11_5
; %bb.4:                                ;   in Loop: Header=BB11_3 Depth=1
	ds_read_u16 v19, v3
	ds_read_u16 v20, v3 offset:2
	s_waitcnt lgkmcnt(0)
	v_add_u16_e32 v19, v20, v19
	ds_write_b16 v3, v19 offset:2
.LBB11_5:                               ;   in Loop: Header=BB11_3 Depth=1
	s_or_b64 exec, exec, s[18:19]
	s_waitcnt lgkmcnt(0)
	s_barrier
	s_and_saveexec_b64 s[18:19], s[4:5]
	s_cbranch_execz .LBB11_7
; %bb.6:                                ;   in Loop: Header=BB11_3 Depth=1
	ds_read_u16 v19, v4
	ds_read_u16 v20, v5
	s_waitcnt lgkmcnt(0)
	v_add_u16_e32 v19, v20, v19
	ds_write_b16 v5, v19
.LBB11_7:                               ;   in Loop: Header=BB11_3 Depth=1
	s_or_b64 exec, exec, s[18:19]
	s_waitcnt lgkmcnt(0)
	s_barrier
	s_and_saveexec_b64 s[18:19], s[8:9]
	s_cbranch_execz .LBB11_9
; %bb.8:                                ;   in Loop: Header=BB11_3 Depth=1
	ds_read_u16 v19, v6
	ds_read_u16 v20, v7
	s_waitcnt lgkmcnt(0)
	v_add_u16_e32 v19, v20, v19
	ds_write_b16 v7, v19
.LBB11_9:                               ;   in Loop: Header=BB11_3 Depth=1
	s_or_b64 exec, exec, s[18:19]
	s_waitcnt lgkmcnt(0)
	s_barrier
	s_and_saveexec_b64 s[18:19], s[10:11]
	s_cbranch_execz .LBB11_11
; %bb.10:                               ;   in Loop: Header=BB11_3 Depth=1
	ds_read_u16 v19, v8
	ds_read_u16 v20, v9
	s_waitcnt lgkmcnt(0)
	v_add_u16_e32 v19, v20, v19
	ds_write_b16 v9, v19
.LBB11_11:                              ;   in Loop: Header=BB11_3 Depth=1
	s_or_b64 exec, exec, s[18:19]
	s_waitcnt lgkmcnt(0)
	s_barrier
	s_and_saveexec_b64 s[18:19], s[12:13]
	s_cbranch_execz .LBB11_13
; %bb.12:                               ;   in Loop: Header=BB11_3 Depth=1
	ds_read_u16 v19, v10
	ds_read_u16 v20, v11
	s_waitcnt lgkmcnt(0)
	v_add_u16_e32 v19, v20, v19
	ds_write_b16 v11, v19
.LBB11_13:                              ;   in Loop: Header=BB11_3 Depth=1
	;; [unrolled: 12-line block ×4, first 2 shown]
	s_or_b64 exec, exec, s[18:19]
	s_waitcnt lgkmcnt(0)
	s_barrier
	s_and_saveexec_b64 s[18:19], s[0:1]
	s_cbranch_execz .LBB11_19
; %bb.18:                               ;   in Loop: Header=BB11_3 Depth=1
	ds_read_u16 v19, v16 offset:260
	ds_read_u16 v20, v16 offset:524
	s_waitcnt lgkmcnt(0)
	v_add_u32_e32 v19, v20, v19
	ds_write_b16 v16, v19 offset:524
.LBB11_19:                              ;   in Loop: Header=BB11_3 Depth=1
	s_or_b64 exec, exec, s[18:19]
	s_and_saveexec_b64 s[18:19], s[0:1]
; %bb.20:                               ;   in Loop: Header=BB11_3 Depth=1
	ds_write_b16 v16, v16 offset:524
; %bb.21:                               ;   in Loop: Header=BB11_3 Depth=1
	s_or_b64 exec, exec, s[18:19]
	s_waitcnt lgkmcnt(0)
	s_barrier
	s_and_saveexec_b64 s[18:19], s[0:1]
	s_cbranch_execz .LBB11_23
; %bb.22:                               ;   in Loop: Header=BB11_3 Depth=1
	ds_read_u16 v19, v16 offset:524
	ds_read_u16 v20, v16 offset:260
	s_waitcnt lgkmcnt(1)
	ds_write_b16 v16, v19 offset:260
	s_waitcnt lgkmcnt(1)
	v_add_u32_e32 v19, v19, v20
	ds_write_b16 v16, v19 offset:524
.LBB11_23:                              ;   in Loop: Header=BB11_3 Depth=1
	s_or_b64 exec, exec, s[18:19]
	s_waitcnt lgkmcnt(0)
	s_barrier
	s_and_saveexec_b64 s[18:19], s[16:17]
	s_cbranch_execz .LBB11_25
; %bb.24:                               ;   in Loop: Header=BB11_3 Depth=1
	ds_read_u16 v19, v15
	ds_read_u16 v20, v13
	s_waitcnt lgkmcnt(1)
	ds_write_b16 v13, v19
	s_waitcnt lgkmcnt(1)
	v_add_u16_e32 v19, v19, v20
	ds_write_b16 v15, v19
.LBB11_25:                              ;   in Loop: Header=BB11_3 Depth=1
	s_or_b64 exec, exec, s[18:19]
	s_waitcnt lgkmcnt(0)
	s_barrier
	s_and_saveexec_b64 s[18:19], s[14:15]
	s_cbranch_execz .LBB11_27
; %bb.26:                               ;   in Loop: Header=BB11_3 Depth=1
	ds_read_u16 v19, v14
	ds_read_u16 v20, v12
	s_waitcnt lgkmcnt(1)
	ds_write_b16 v12, v19
	s_waitcnt lgkmcnt(1)
	v_add_u16_e32 v19, v19, v20
	ds_write_b16 v14, v19
.LBB11_27:                              ;   in Loop: Header=BB11_3 Depth=1
	;; [unrolled: 14-line block ×6, first 2 shown]
	s_or_b64 exec, exec, s[18:19]
	s_waitcnt lgkmcnt(0)
	s_barrier
	s_and_saveexec_b64 s[18:19], s[2:3]
	s_cbranch_execz .LBB11_2
; %bb.36:                               ;   in Loop: Header=BB11_3 Depth=1
	ds_read_u16 v19, v0 offset:2
	ds_read_u16 v20, v0
	s_waitcnt lgkmcnt(1)
	ds_write_b16 v0, v19
	s_waitcnt lgkmcnt(1)
	v_add_u16_e32 v19, v19, v20
	ds_write_b16 v0, v19 offset:2
	s_branch .LBB11_2
.LBB11_37:
	s_endpgm
	.section	.rodata,"a",@progbits
	.p2align	6, 0x0
	.amdhsa_kernel _Z9scan_bcaoIsLi256EEvlPT_PKS0_
		.amdhsa_group_segment_fixed_size 1024
		.amdhsa_private_segment_fixed_size 0
		.amdhsa_kernarg_size 280
		.amdhsa_user_sgpr_count 6
		.amdhsa_user_sgpr_private_segment_buffer 1
		.amdhsa_user_sgpr_dispatch_ptr 0
		.amdhsa_user_sgpr_queue_ptr 0
		.amdhsa_user_sgpr_kernarg_segment_ptr 1
		.amdhsa_user_sgpr_dispatch_id 0
		.amdhsa_user_sgpr_flat_scratch_init 0
		.amdhsa_user_sgpr_private_segment_size 0
		.amdhsa_uses_dynamic_stack 0
		.amdhsa_system_sgpr_private_segment_wavefront_offset 0
		.amdhsa_system_sgpr_workgroup_id_x 1
		.amdhsa_system_sgpr_workgroup_id_y 0
		.amdhsa_system_sgpr_workgroup_id_z 0
		.amdhsa_system_sgpr_workgroup_info 0
		.amdhsa_system_vgpr_workitem_id 0
		.amdhsa_next_free_vgpr 23
		.amdhsa_next_free_sgpr 30
		.amdhsa_reserve_vcc 1
		.amdhsa_reserve_flat_scratch 0
		.amdhsa_float_round_mode_32 0
		.amdhsa_float_round_mode_16_64 0
		.amdhsa_float_denorm_mode_32 3
		.amdhsa_float_denorm_mode_16_64 3
		.amdhsa_dx10_clamp 1
		.amdhsa_ieee_mode 1
		.amdhsa_fp16_overflow 0
		.amdhsa_exception_fp_ieee_invalid_op 0
		.amdhsa_exception_fp_denorm_src 0
		.amdhsa_exception_fp_ieee_div_zero 0
		.amdhsa_exception_fp_ieee_overflow 0
		.amdhsa_exception_fp_ieee_underflow 0
		.amdhsa_exception_fp_ieee_inexact 0
		.amdhsa_exception_int_div_zero 0
	.end_amdhsa_kernel
	.section	.text._Z9scan_bcaoIsLi256EEvlPT_PKS0_,"axG",@progbits,_Z9scan_bcaoIsLi256EEvlPT_PKS0_,comdat
.Lfunc_end11:
	.size	_Z9scan_bcaoIsLi256EEvlPT_PKS0_, .Lfunc_end11-_Z9scan_bcaoIsLi256EEvlPT_PKS0_
                                        ; -- End function
	.set _Z9scan_bcaoIsLi256EEvlPT_PKS0_.num_vgpr, 23
	.set _Z9scan_bcaoIsLi256EEvlPT_PKS0_.num_agpr, 0
	.set _Z9scan_bcaoIsLi256EEvlPT_PKS0_.numbered_sgpr, 30
	.set _Z9scan_bcaoIsLi256EEvlPT_PKS0_.num_named_barrier, 0
	.set _Z9scan_bcaoIsLi256EEvlPT_PKS0_.private_seg_size, 0
	.set _Z9scan_bcaoIsLi256EEvlPT_PKS0_.uses_vcc, 1
	.set _Z9scan_bcaoIsLi256EEvlPT_PKS0_.uses_flat_scratch, 0
	.set _Z9scan_bcaoIsLi256EEvlPT_PKS0_.has_dyn_sized_stack, 0
	.set _Z9scan_bcaoIsLi256EEvlPT_PKS0_.has_recursion, 0
	.set _Z9scan_bcaoIsLi256EEvlPT_PKS0_.has_indirect_call, 0
	.section	.AMDGPU.csdata,"",@progbits
; Kernel info:
; codeLenInByte = 1680
; TotalNumSgprs: 34
; NumVgprs: 23
; ScratchSize: 0
; MemoryBound: 0
; FloatMode: 240
; IeeeMode: 1
; LDSByteSize: 1024 bytes/workgroup (compile time only)
; SGPRBlocks: 4
; VGPRBlocks: 5
; NumSGPRsForWavesPerEU: 34
; NumVGPRsForWavesPerEU: 23
; Occupancy: 10
; WaveLimiterHint : 1
; COMPUTE_PGM_RSRC2:SCRATCH_EN: 0
; COMPUTE_PGM_RSRC2:USER_SGPR: 6
; COMPUTE_PGM_RSRC2:TRAP_HANDLER: 0
; COMPUTE_PGM_RSRC2:TGID_X_EN: 1
; COMPUTE_PGM_RSRC2:TGID_Y_EN: 0
; COMPUTE_PGM_RSRC2:TGID_Z_EN: 0
; COMPUTE_PGM_RSRC2:TIDIG_COMP_CNT: 0
	.section	.text._Z4scanIiLi256EEvlPT_PKS0_,"axG",@progbits,_Z4scanIiLi256EEvlPT_PKS0_,comdat
	.protected	_Z4scanIiLi256EEvlPT_PKS0_ ; -- Begin function _Z4scanIiLi256EEvlPT_PKS0_
	.globl	_Z4scanIiLi256EEvlPT_PKS0_
	.p2align	8
	.type	_Z4scanIiLi256EEvlPT_PKS0_,@function
_Z4scanIiLi256EEvlPT_PKS0_:             ; @_Z4scanIiLi256EEvlPT_PKS0_
; %bb.0:
	s_load_dwordx2 s[24:25], s[4:5], 0x0
	s_mov_b32 s7, 0
	v_mov_b32_e32 v1, s6
	v_mov_b32_e32 v2, s7
	s_waitcnt lgkmcnt(0)
	v_cmp_le_i64_e32 vcc, s[24:25], v[1:2]
	s_cbranch_vccnz .LBB12_39
; %bb.1:
	v_lshlrev_b32_e32 v1, 1, v0
	v_or_b32_e32 v13, 1, v1
	v_add_u32_e32 v1, 2, v1
	s_load_dwordx4 s[20:23], s[4:5], 0x8
	s_load_dword s26, s[4:5], 0x18
	v_lshlrev_b32_e32 v5, 3, v13
	v_lshlrev_b32_e32 v6, 3, v1
	v_add_u32_e32 v3, -4, v5
	v_add_u32_e32 v4, -4, v6
	v_add_u32_e32 v5, v3, v5
	v_add_u32_e32 v6, v4, v6
	v_lshlrev_b32_e32 v2, 3, v0
	s_mov_b32 s27, s7
	s_movk_i32 s2, 0x80
	s_movk_i32 s4, 0x7f
	v_lshl_add_u32 v7, v13, 4, v5
	v_lshl_add_u32 v8, v1, 4, v6
	s_lshl_b64 s[28:29], s[6:7], 10
	v_cmp_eq_u32_e64 s[0:1], 0, v0
	v_cmp_gt_u32_e64 s[2:3], s2, v0
	v_cmp_lt_u32_e64 s[4:5], s4, v0
	v_cmp_gt_u32_e64 s[8:9], 64, v0
	v_cmp_gt_u32_e64 s[10:11], 32, v0
	;; [unrolled: 1-line block ×4, first 2 shown]
	v_lshl_add_u32 v9, v13, 5, v7
	v_lshl_add_u32 v10, v1, 5, v8
	v_cmp_gt_u32_e64 s[16:17], 4, v0
	v_cmp_gt_u32_e64 s[18:19], 2, v0
	v_mov_b32_e32 v0, s29
	v_add_co_u32_e32 v16, vcc, s28, v2
	s_waitcnt lgkmcnt(0)
	s_lshl_b64 s[28:29], s[26:27], 10
	v_lshl_add_u32 v11, v13, 6, v9
	v_lshl_add_u32 v12, v1, 6, v10
	s_add_u32 s27, s20, 4
	v_lshl_add_u32 v13, v13, 7, v11
	v_lshl_add_u32 v14, v1, 7, v12
	v_mov_b32_e32 v15, 0
	v_addc_co_u32_e32 v17, vcc, 0, v0, vcc
	s_addc_u32 s30, s21, 0
	v_mov_b32_e32 v18, s23
	s_branch .LBB12_3
.LBB12_2:                               ;   in Loop: Header=BB12_3 Depth=1
	s_or_b64 exec, exec, s[20:21]
	v_mov_b32_e32 v20, s30
	v_add_co_u32_e32 v19, vcc, s27, v16
	v_addc_co_u32_e32 v20, vcc, v20, v17, vcc
	s_waitcnt lgkmcnt(0)
	global_store_dwordx2 v[19:20], v[0:1], off offset:-4
	s_add_u32 s6, s6, s26
	v_mov_b32_e32 v0, s24
	s_addc_u32 s7, s7, 0
	v_mov_b32_e32 v1, s25
	v_cmp_ge_i64_e32 vcc, s[6:7], v[0:1]
	v_mov_b32_e32 v19, s29
	v_add_co_u32_e64 v16, s[20:21], s28, v16
	v_addc_co_u32_e64 v17, s[20:21], v17, v19, s[20:21]
	s_cbranch_vccnz .LBB12_39
.LBB12_3:                               ; =>This Inner Loop Header: Depth=1
	v_add_co_u32_e32 v0, vcc, s22, v16
	v_addc_co_u32_e32 v1, vcc, v18, v17, vcc
	global_load_dwordx2 v[0:1], v[0:1], off
	s_waitcnt vmcnt(0)
	ds_write_b64 v2, v[0:1]
	s_waitcnt lgkmcnt(0)
	s_barrier
	s_and_saveexec_b64 s[20:21], s[2:3]
	s_cbranch_execz .LBB12_5
; %bb.4:                                ;   in Loop: Header=BB12_3 Depth=1
	ds_read_b64 v[0:1], v2
	s_waitcnt lgkmcnt(0)
	v_add_u32_e32 v0, v1, v0
	ds_write_b32 v2, v0 offset:4
.LBB12_5:                               ;   in Loop: Header=BB12_3 Depth=1
	s_or_b64 exec, exec, s[20:21]
	s_waitcnt lgkmcnt(0)
	s_barrier
	s_and_saveexec_b64 s[20:21], s[8:9]
	s_cbranch_execz .LBB12_7
; %bb.6:                                ;   in Loop: Header=BB12_3 Depth=1
	ds_read_b32 v0, v3
	ds_read_b32 v1, v4
	s_waitcnt lgkmcnt(0)
	v_add_u32_e32 v0, v1, v0
	ds_write_b32 v4, v0
.LBB12_7:                               ;   in Loop: Header=BB12_3 Depth=1
	s_or_b64 exec, exec, s[20:21]
	s_waitcnt lgkmcnt(0)
	s_barrier
	s_and_saveexec_b64 s[20:21], s[10:11]
	s_cbranch_execz .LBB12_9
; %bb.8:                                ;   in Loop: Header=BB12_3 Depth=1
	ds_read_b32 v0, v5
	ds_read_b32 v1, v6
	s_waitcnt lgkmcnt(0)
	v_add_u32_e32 v0, v1, v0
	ds_write_b32 v6, v0
.LBB12_9:                               ;   in Loop: Header=BB12_3 Depth=1
	s_or_b64 exec, exec, s[20:21]
	s_waitcnt lgkmcnt(0)
	s_barrier
	s_and_saveexec_b64 s[20:21], s[12:13]
	s_cbranch_execz .LBB12_11
; %bb.10:                               ;   in Loop: Header=BB12_3 Depth=1
	ds_read_b32 v0, v7
	ds_read_b32 v1, v8
	s_waitcnt lgkmcnt(0)
	v_add_u32_e32 v0, v1, v0
	ds_write_b32 v8, v0
.LBB12_11:                              ;   in Loop: Header=BB12_3 Depth=1
	s_or_b64 exec, exec, s[20:21]
	s_waitcnt lgkmcnt(0)
	s_barrier
	s_and_saveexec_b64 s[20:21], s[14:15]
	s_cbranch_execz .LBB12_13
; %bb.12:                               ;   in Loop: Header=BB12_3 Depth=1
	ds_read_b32 v0, v9
	ds_read_b32 v1, v10
	s_waitcnt lgkmcnt(0)
	v_add_u32_e32 v0, v1, v0
	ds_write_b32 v10, v0
.LBB12_13:                              ;   in Loop: Header=BB12_3 Depth=1
	;; [unrolled: 12-line block ×4, first 2 shown]
	s_or_b64 exec, exec, s[20:21]
	s_waitcnt lgkmcnt(0)
	s_barrier
	s_and_saveexec_b64 s[20:21], s[0:1]
	s_cbranch_execz .LBB12_19
; %bb.18:                               ;   in Loop: Header=BB12_3 Depth=1
	ds_read2_b32 v[0:1], v15 offset0:127 offset1:255
	s_waitcnt lgkmcnt(0)
	v_add_u32_e32 v0, v1, v0
	ds_write_b32 v15, v0 offset:1020
.LBB12_19:                              ;   in Loop: Header=BB12_3 Depth=1
	s_or_b64 exec, exec, s[20:21]
	s_and_saveexec_b64 s[20:21], s[0:1]
; %bb.20:                               ;   in Loop: Header=BB12_3 Depth=1
	ds_write_b32 v15, v15 offset:1020
; %bb.21:                               ;   in Loop: Header=BB12_3 Depth=1
	s_or_b64 exec, exec, s[20:21]
	s_waitcnt lgkmcnt(0)
	s_barrier
	s_and_saveexec_b64 s[20:21], s[0:1]
	s_cbranch_execz .LBB12_23
; %bb.22:                               ;   in Loop: Header=BB12_3 Depth=1
	ds_read2_b32 v[0:1], v15 offset0:127 offset1:255
	s_waitcnt lgkmcnt(0)
	v_add_u32_e32 v0, v1, v0
	ds_write2_b32 v15, v1, v0 offset0:127 offset1:255
.LBB12_23:                              ;   in Loop: Header=BB12_3 Depth=1
	s_or_b64 exec, exec, s[20:21]
	s_waitcnt lgkmcnt(0)
	s_barrier
	s_and_saveexec_b64 s[20:21], s[18:19]
	s_cbranch_execz .LBB12_25
; %bb.24:                               ;   in Loop: Header=BB12_3 Depth=1
	ds_read_b32 v0, v14
	ds_read_b32 v1, v13
	s_waitcnt lgkmcnt(1)
	ds_write_b32 v13, v0
	s_waitcnt lgkmcnt(1)
	v_add_u32_e32 v0, v0, v1
	ds_write_b32 v14, v0
.LBB12_25:                              ;   in Loop: Header=BB12_3 Depth=1
	s_or_b64 exec, exec, s[20:21]
	s_waitcnt lgkmcnt(0)
	s_barrier
	s_and_saveexec_b64 s[20:21], s[16:17]
	s_cbranch_execz .LBB12_27
; %bb.26:                               ;   in Loop: Header=BB12_3 Depth=1
	ds_read_b32 v0, v12
	ds_read_b32 v1, v11
	s_waitcnt lgkmcnt(1)
	ds_write_b32 v11, v0
	s_waitcnt lgkmcnt(1)
	v_add_u32_e32 v0, v0, v1
	ds_write_b32 v12, v0
.LBB12_27:                              ;   in Loop: Header=BB12_3 Depth=1
	;; [unrolled: 14-line block ×6, first 2 shown]
	s_or_b64 exec, exec, s[20:21]
	s_waitcnt lgkmcnt(0)
	s_barrier
                                        ; implicit-def: $vgpr0
	s_and_saveexec_b64 s[20:21], s[4:5]
	s_xor_b64 s[20:21], exec, s[20:21]
; %bb.36:                               ;   in Loop: Header=BB12_3 Depth=1
	ds_read_b64 v[0:1], v2
; %bb.37:                               ;   in Loop: Header=BB12_3 Depth=1
	s_andn2_saveexec_b64 s[20:21], s[20:21]
	s_cbranch_execz .LBB12_2
; %bb.38:                               ;   in Loop: Header=BB12_3 Depth=1
	ds_read_b64 v[19:20], v2
	s_waitcnt lgkmcnt(0)
	v_add_u32_e32 v1, v20, v19
	v_mov_b32_e32 v0, v20
	ds_write_b64 v2, v[0:1]
	s_branch .LBB12_2
.LBB12_39:
	s_endpgm
	.section	.rodata,"a",@progbits
	.p2align	6, 0x0
	.amdhsa_kernel _Z4scanIiLi256EEvlPT_PKS0_
		.amdhsa_group_segment_fixed_size 1024
		.amdhsa_private_segment_fixed_size 0
		.amdhsa_kernarg_size 280
		.amdhsa_user_sgpr_count 6
		.amdhsa_user_sgpr_private_segment_buffer 1
		.amdhsa_user_sgpr_dispatch_ptr 0
		.amdhsa_user_sgpr_queue_ptr 0
		.amdhsa_user_sgpr_kernarg_segment_ptr 1
		.amdhsa_user_sgpr_dispatch_id 0
		.amdhsa_user_sgpr_flat_scratch_init 0
		.amdhsa_user_sgpr_private_segment_size 0
		.amdhsa_uses_dynamic_stack 0
		.amdhsa_system_sgpr_private_segment_wavefront_offset 0
		.amdhsa_system_sgpr_workgroup_id_x 1
		.amdhsa_system_sgpr_workgroup_id_y 0
		.amdhsa_system_sgpr_workgroup_id_z 0
		.amdhsa_system_sgpr_workgroup_info 0
		.amdhsa_system_vgpr_workitem_id 0
		.amdhsa_next_free_vgpr 21
		.amdhsa_next_free_sgpr 31
		.amdhsa_reserve_vcc 1
		.amdhsa_reserve_flat_scratch 0
		.amdhsa_float_round_mode_32 0
		.amdhsa_float_round_mode_16_64 0
		.amdhsa_float_denorm_mode_32 3
		.amdhsa_float_denorm_mode_16_64 3
		.amdhsa_dx10_clamp 1
		.amdhsa_ieee_mode 1
		.amdhsa_fp16_overflow 0
		.amdhsa_exception_fp_ieee_invalid_op 0
		.amdhsa_exception_fp_denorm_src 0
		.amdhsa_exception_fp_ieee_div_zero 0
		.amdhsa_exception_fp_ieee_overflow 0
		.amdhsa_exception_fp_ieee_underflow 0
		.amdhsa_exception_fp_ieee_inexact 0
		.amdhsa_exception_int_div_zero 0
	.end_amdhsa_kernel
	.section	.text._Z4scanIiLi256EEvlPT_PKS0_,"axG",@progbits,_Z4scanIiLi256EEvlPT_PKS0_,comdat
.Lfunc_end12:
	.size	_Z4scanIiLi256EEvlPT_PKS0_, .Lfunc_end12-_Z4scanIiLi256EEvlPT_PKS0_
                                        ; -- End function
	.set _Z4scanIiLi256EEvlPT_PKS0_.num_vgpr, 21
	.set _Z4scanIiLi256EEvlPT_PKS0_.num_agpr, 0
	.set _Z4scanIiLi256EEvlPT_PKS0_.numbered_sgpr, 31
	.set _Z4scanIiLi256EEvlPT_PKS0_.num_named_barrier, 0
	.set _Z4scanIiLi256EEvlPT_PKS0_.private_seg_size, 0
	.set _Z4scanIiLi256EEvlPT_PKS0_.uses_vcc, 1
	.set _Z4scanIiLi256EEvlPT_PKS0_.uses_flat_scratch, 0
	.set _Z4scanIiLi256EEvlPT_PKS0_.has_dyn_sized_stack, 0
	.set _Z4scanIiLi256EEvlPT_PKS0_.has_recursion, 0
	.set _Z4scanIiLi256EEvlPT_PKS0_.has_indirect_call, 0
	.section	.AMDGPU.csdata,"",@progbits
; Kernel info:
; codeLenInByte = 1292
; TotalNumSgprs: 35
; NumVgprs: 21
; ScratchSize: 0
; MemoryBound: 0
; FloatMode: 240
; IeeeMode: 1
; LDSByteSize: 1024 bytes/workgroup (compile time only)
; SGPRBlocks: 4
; VGPRBlocks: 5
; NumSGPRsForWavesPerEU: 35
; NumVGPRsForWavesPerEU: 21
; Occupancy: 10
; WaveLimiterHint : 0
; COMPUTE_PGM_RSRC2:SCRATCH_EN: 0
; COMPUTE_PGM_RSRC2:USER_SGPR: 6
; COMPUTE_PGM_RSRC2:TRAP_HANDLER: 0
; COMPUTE_PGM_RSRC2:TGID_X_EN: 1
; COMPUTE_PGM_RSRC2:TGID_Y_EN: 0
; COMPUTE_PGM_RSRC2:TGID_Z_EN: 0
; COMPUTE_PGM_RSRC2:TIDIG_COMP_CNT: 0
	.section	.text._Z9scan_bcaoIiLi256EEvlPT_PKS0_,"axG",@progbits,_Z9scan_bcaoIiLi256EEvlPT_PKS0_,comdat
	.protected	_Z9scan_bcaoIiLi256EEvlPT_PKS0_ ; -- Begin function _Z9scan_bcaoIiLi256EEvlPT_PKS0_
	.globl	_Z9scan_bcaoIiLi256EEvlPT_PKS0_
	.p2align	8
	.type	_Z9scan_bcaoIiLi256EEvlPT_PKS0_,@function
_Z9scan_bcaoIiLi256EEvlPT_PKS0_:        ; @_Z9scan_bcaoIiLi256EEvlPT_PKS0_
; %bb.0:
	s_load_dwordx2 s[24:25], s[4:5], 0x0
	s_mov_b32 s7, 0
	v_mov_b32_e32 v1, s6
	v_mov_b32_e32 v2, s7
	s_waitcnt lgkmcnt(0)
	v_cmp_le_i64_e32 vcc, s[24:25], v[1:2]
	s_cbranch_vccnz .LBB13_37
; %bb.1:
	v_lshlrev_b32_e32 v3, 1, v0
	v_or_b32_e32 v14, 1, v3
	v_add_u32_e32 v15, 2, v3
	v_lshlrev_b32_e32 v6, 1, v14
	v_lshlrev_b32_e32 v8, 1, v15
	v_add_u32_e32 v7, -1, v6
	v_add_u32_e32 v9, -1, v8
	v_lshrrev_b32_e32 v5, 3, v9
	v_add_u32_e32 v11, v7, v6
	v_lshrrev_b32_e32 v4, 3, v7
	v_lshlrev_b32_e32 v10, 2, v9
	v_and_b32_e32 v5, 0x1ffffffc, v5
	v_lshrrev_b32_e32 v6, 3, v11
	v_lshlrev_b32_e32 v12, 3, v15
	v_and_b32_e32 v4, 0x1fc, v4
	v_add_u32_e32 v5, v10, v5
	v_add_u32_e32 v8, v9, v8
	v_and_b32_e32 v6, 0x1ffffffc, v6
	v_add_u32_e32 v9, v10, v12
	v_lshl_add_u32 v10, v14, 2, v11
	v_lshl_add_u32 v4, v7, 2, v4
	;; [unrolled: 1-line block ×3, first 2 shown]
	v_lshrrev_b32_e32 v7, 3, v8
	v_lshl_add_u32 v11, v15, 2, v8
	v_lshrrev_b32_e32 v8, 3, v10
	v_and_b32_e32 v8, 0x1ffffffc, v8
	v_lshl_add_u32 v19, v14, 3, v10
	v_lshl_add_u32 v8, v10, 2, v8
	v_lshrrev_b32_e32 v10, 3, v19
	v_and_b32_e32 v10, 0x1ffffffc, v10
	s_load_dwordx4 s[20:23], s[4:5], 0x8
	s_load_dword s26, s[4:5], 0x18
	v_and_b32_e32 v7, 0x1ffffffc, v7
	v_lshlrev_b32_e32 v13, 4, v15
	v_add_u32_e32 v12, v11, v12
	v_lshl_add_u32 v10, v19, 2, v10
	v_lshl_add_u32 v19, v14, 4, v19
	v_add_u32_e32 v7, v9, v7
	v_add_u32_e32 v18, v9, v13
	v_lshrrev_b32_e32 v9, 3, v11
	v_lshrrev_b32_e32 v11, 3, v12
	v_add_u32_e32 v21, v12, v13
	v_lshrrev_b32_e32 v12, 3, v19
	v_lshlrev_b32_e32 v20, 5, v15
	v_and_b32_e32 v12, 0x1ffffffc, v12
	v_add_u32_e32 v2, 0x80, v0
	v_and_b32_e32 v9, 0x1ffffffc, v9
	v_lshl_add_u32 v12, v19, 2, v12
	v_lshl_add_u32 v14, v14, 5, v19
	v_add_u32_e32 v19, v21, v20
	v_lshrrev_b32_e32 v1, 3, v0
	v_lshrrev_b32_e32 v2, 3, v2
	s_mov_b32 s27, s7
	v_lshrrev_b32_e32 v3, 2, v0
	v_add_u32_e32 v9, v18, v9
	v_add_u32_e32 v18, v18, v20
	v_and_b32_e32 v11, 0x1ffffffc, v11
	v_lshrrev_b32_e32 v13, 3, v21
	v_lshrrev_b32_e32 v19, 3, v19
	v_lshlrev_b32_e32 v17, 2, v0
	v_and_b32_e32 v1, 0x7c, v1
	v_and_b32_e32 v2, 0xfc, v2
	;; [unrolled: 1-line block ×3, first 2 shown]
	v_add_u32_e32 v11, v18, v11
	v_lshl_add_u32 v18, v15, 6, v18
	v_and_b32_e32 v13, 0x1ffffffc, v13
	v_lshrrev_b32_e32 v20, 3, v14
	v_lshlrev_b32_e32 v15, 7, v15
	v_and_b32_e32 v19, 0x1ffffffc, v19
	s_lshl_b64 s[18:19], s[6:7], 10
	s_waitcnt lgkmcnt(0)
	s_lshl_b64 s[28:29], s[26:27], 10
	s_movk_i32 s2, 0x80
	v_add_u32_e32 v1, v17, v1
	v_add_u32_e32 v2, v17, v2
	v_add3_u32 v3, v17, v17, v16
	v_add_u32_e32 v13, v18, v13
	v_and_b32_e32 v20, 0x1ffffffc, v20
	v_add3_u32 v15, v18, v15, v19
	v_mov_b32_e32 v18, s19
	v_add_co_u32_e32 v17, vcc, s18, v17
	s_add_u32 s20, s20, 0x200
	v_cmp_eq_u32_e64 s[0:1], 0, v0
	v_cmp_gt_u32_e64 s[2:3], s2, v0
	v_cmp_gt_u32_e64 s[4:5], 64, v0
	;; [unrolled: 1-line block ×7, first 2 shown]
	v_lshl_add_u32 v14, v14, 2, v20
	v_lshl_add_u32 v0, v0, 3, v16
	v_mov_b32_e32 v16, 0
	v_addc_co_u32_e32 v18, vcc, 0, v18, vcc
	s_addc_u32 s21, s21, 0
	s_movk_i32 s27, 0x200
	s_branch .LBB13_3
.LBB13_2:                               ;   in Loop: Header=BB13_3 Depth=1
	s_or_b64 exec, exec, s[18:19]
	s_waitcnt lgkmcnt(0)
	s_barrier
	ds_read_b32 v21, v1
	ds_read_b32 v22, v2 offset:512
	v_mov_b32_e32 v20, s21
	v_add_co_u32_e32 v19, vcc, s20, v17
	v_addc_co_u32_e32 v20, vcc, v20, v18, vcc
	s_waitcnt lgkmcnt(1)
	global_store_dword v[19:20], v21, off offset:-512
	s_waitcnt lgkmcnt(0)
	global_store_dword v[19:20], v22, off
	s_add_u32 s6, s6, s26
	v_mov_b32_e32 v19, s24
	s_addc_u32 s7, s7, 0
	v_mov_b32_e32 v20, s25
	v_cmp_ge_i64_e32 vcc, s[6:7], v[19:20]
	v_mov_b32_e32 v21, s29
	v_add_co_u32_e64 v17, s[18:19], s28, v17
	v_addc_co_u32_e64 v18, s[18:19], v18, v21, s[18:19]
	s_cbranch_vccnz .LBB13_37
.LBB13_3:                               ; =>This Inner Loop Header: Depth=1
	v_mov_b32_e32 v20, s23
	v_add_co_u32_e32 v19, vcc, s22, v17
	v_addc_co_u32_e32 v20, vcc, v20, v18, vcc
	global_load_dword v21, v[19:20], off
	global_load_dword v22, v[19:20], off offset:512
	s_waitcnt vmcnt(1)
	ds_write_b32 v1, v21
	s_waitcnt vmcnt(0)
	ds_write_b32 v2, v22 offset:512
	s_waitcnt lgkmcnt(0)
	s_barrier
	s_and_saveexec_b64 s[18:19], s[2:3]
	s_cbranch_execz .LBB13_5
; %bb.4:                                ;   in Loop: Header=BB13_3 Depth=1
	ds_read2_b32 v[19:20], v3 offset1:1
	s_waitcnt lgkmcnt(0)
	v_add_u32_e32 v19, v20, v19
	ds_write_b32 v3, v19 offset:4
.LBB13_5:                               ;   in Loop: Header=BB13_3 Depth=1
	s_or_b64 exec, exec, s[18:19]
	s_waitcnt lgkmcnt(0)
	s_barrier
	s_and_saveexec_b64 s[18:19], s[4:5]
	s_cbranch_execz .LBB13_7
; %bb.6:                                ;   in Loop: Header=BB13_3 Depth=1
	ds_read_b32 v19, v4
	ds_read_b32 v20, v5
	s_waitcnt lgkmcnt(0)
	v_add_u32_e32 v19, v20, v19
	ds_write_b32 v5, v19
.LBB13_7:                               ;   in Loop: Header=BB13_3 Depth=1
	s_or_b64 exec, exec, s[18:19]
	s_waitcnt lgkmcnt(0)
	s_barrier
	s_and_saveexec_b64 s[18:19], s[8:9]
	s_cbranch_execz .LBB13_9
; %bb.8:                                ;   in Loop: Header=BB13_3 Depth=1
	ds_read_b32 v19, v6
	ds_read_b32 v20, v7
	s_waitcnt lgkmcnt(0)
	v_add_u32_e32 v19, v20, v19
	ds_write_b32 v7, v19
.LBB13_9:                               ;   in Loop: Header=BB13_3 Depth=1
	s_or_b64 exec, exec, s[18:19]
	s_waitcnt lgkmcnt(0)
	s_barrier
	s_and_saveexec_b64 s[18:19], s[10:11]
	s_cbranch_execz .LBB13_11
; %bb.10:                               ;   in Loop: Header=BB13_3 Depth=1
	ds_read_b32 v19, v8
	ds_read_b32 v20, v9
	s_waitcnt lgkmcnt(0)
	v_add_u32_e32 v19, v20, v19
	ds_write_b32 v9, v19
.LBB13_11:                              ;   in Loop: Header=BB13_3 Depth=1
	s_or_b64 exec, exec, s[18:19]
	s_waitcnt lgkmcnt(0)
	s_barrier
	s_and_saveexec_b64 s[18:19], s[12:13]
	s_cbranch_execz .LBB13_13
; %bb.12:                               ;   in Loop: Header=BB13_3 Depth=1
	ds_read_b32 v19, v10
	ds_read_b32 v20, v11
	s_waitcnt lgkmcnt(0)
	v_add_u32_e32 v19, v20, v19
	ds_write_b32 v11, v19
.LBB13_13:                              ;   in Loop: Header=BB13_3 Depth=1
	;; [unrolled: 12-line block ×4, first 2 shown]
	s_or_b64 exec, exec, s[18:19]
	v_add_u32_e64 v19, s27, 0
	s_waitcnt lgkmcnt(0)
	s_barrier
	s_and_saveexec_b64 s[18:19], s[0:1]
	s_cbranch_execz .LBB13_19
; %bb.18:                               ;   in Loop: Header=BB13_3 Depth=1
	ds_read2_b32 v[20:21], v19 offset0:2 offset1:134
	s_waitcnt lgkmcnt(0)
	v_add_u32_e32 v20, v21, v20
	ds_write_b32 v16, v20 offset:1048
.LBB13_19:                              ;   in Loop: Header=BB13_3 Depth=1
	s_or_b64 exec, exec, s[18:19]
	s_and_saveexec_b64 s[18:19], s[0:1]
; %bb.20:                               ;   in Loop: Header=BB13_3 Depth=1
	ds_write_b32 v16, v16 offset:1048
; %bb.21:                               ;   in Loop: Header=BB13_3 Depth=1
	s_or_b64 exec, exec, s[18:19]
	s_waitcnt lgkmcnt(0)
	s_barrier
	s_and_saveexec_b64 s[18:19], s[0:1]
	s_cbranch_execz .LBB13_23
; %bb.22:                               ;   in Loop: Header=BB13_3 Depth=1
	ds_read2_b32 v[20:21], v19 offset0:2 offset1:134
	s_waitcnt lgkmcnt(0)
	v_add_u32_e32 v20, v21, v20
	ds_write2_b32 v19, v21, v20 offset0:2 offset1:134
.LBB13_23:                              ;   in Loop: Header=BB13_3 Depth=1
	s_or_b64 exec, exec, s[18:19]
	s_waitcnt lgkmcnt(0)
	s_barrier
	s_and_saveexec_b64 s[18:19], s[16:17]
	s_cbranch_execz .LBB13_25
; %bb.24:                               ;   in Loop: Header=BB13_3 Depth=1
	ds_read_b32 v19, v15
	ds_read_b32 v20, v14
	s_waitcnt lgkmcnt(1)
	ds_write_b32 v14, v19
	s_waitcnt lgkmcnt(1)
	v_add_u32_e32 v19, v19, v20
	ds_write_b32 v15, v19
.LBB13_25:                              ;   in Loop: Header=BB13_3 Depth=1
	s_or_b64 exec, exec, s[18:19]
	s_waitcnt lgkmcnt(0)
	s_barrier
	s_and_saveexec_b64 s[18:19], s[14:15]
	s_cbranch_execz .LBB13_27
; %bb.26:                               ;   in Loop: Header=BB13_3 Depth=1
	ds_read_b32 v19, v13
	ds_read_b32 v20, v12
	s_waitcnt lgkmcnt(1)
	ds_write_b32 v12, v19
	s_waitcnt lgkmcnt(1)
	v_add_u32_e32 v19, v19, v20
	ds_write_b32 v13, v19
.LBB13_27:                              ;   in Loop: Header=BB13_3 Depth=1
	s_or_b64 exec, exec, s[18:19]
	s_waitcnt lgkmcnt(0)
	s_barrier
	s_and_saveexec_b64 s[18:19], s[12:13]
	s_cbranch_execz .LBB13_29
; %bb.28:                               ;   in Loop: Header=BB13_3 Depth=1
	ds_read_b32 v19, v11
	ds_read_b32 v20, v10
	s_waitcnt lgkmcnt(1)
	ds_write_b32 v10, v19
	s_waitcnt lgkmcnt(1)
	v_add_u32_e32 v19, v19, v20
	ds_write_b32 v11, v19
.LBB13_29:                              ;   in Loop: Header=BB13_3 Depth=1
	s_or_b64 exec, exec, s[18:19]
	s_waitcnt lgkmcnt(0)
	s_barrier
	s_and_saveexec_b64 s[18:19], s[10:11]
	s_cbranch_execz .LBB13_31
; %bb.30:                               ;   in Loop: Header=BB13_3 Depth=1
	ds_read_b32 v19, v9
	ds_read_b32 v20, v8
	s_waitcnt lgkmcnt(1)
	ds_write_b32 v8, v19
	s_waitcnt lgkmcnt(1)
	v_add_u32_e32 v19, v19, v20
	ds_write_b32 v9, v19
.LBB13_31:                              ;   in Loop: Header=BB13_3 Depth=1
	s_or_b64 exec, exec, s[18:19]
	s_waitcnt lgkmcnt(0)
	s_barrier
	s_and_saveexec_b64 s[18:19], s[8:9]
	s_cbranch_execz .LBB13_33
; %bb.32:                               ;   in Loop: Header=BB13_3 Depth=1
	ds_read_b32 v19, v7
	ds_read_b32 v20, v6
	s_waitcnt lgkmcnt(1)
	ds_write_b32 v6, v19
	s_waitcnt lgkmcnt(1)
	v_add_u32_e32 v19, v19, v20
	ds_write_b32 v7, v19
.LBB13_33:                              ;   in Loop: Header=BB13_3 Depth=1
	s_or_b64 exec, exec, s[18:19]
	s_waitcnt lgkmcnt(0)
	s_barrier
	s_and_saveexec_b64 s[18:19], s[4:5]
	s_cbranch_execz .LBB13_35
; %bb.34:                               ;   in Loop: Header=BB13_3 Depth=1
	ds_read_b32 v19, v5
	ds_read_b32 v20, v4
	s_waitcnt lgkmcnt(1)
	ds_write_b32 v4, v19
	s_waitcnt lgkmcnt(1)
	v_add_u32_e32 v19, v19, v20
	ds_write_b32 v5, v19
.LBB13_35:                              ;   in Loop: Header=BB13_3 Depth=1
	s_or_b64 exec, exec, s[18:19]
	s_waitcnt lgkmcnt(0)
	s_barrier
	s_and_saveexec_b64 s[18:19], s[2:3]
	s_cbranch_execz .LBB13_2
; %bb.36:                               ;   in Loop: Header=BB13_3 Depth=1
	ds_read2_b32 v[19:20], v0 offset1:1
	s_waitcnt lgkmcnt(0)
	v_add_u32_e32 v19, v20, v19
	ds_write2_b32 v0, v20, v19 offset1:1
	s_branch .LBB13_2
.LBB13_37:
	s_endpgm
	.section	.rodata,"a",@progbits
	.p2align	6, 0x0
	.amdhsa_kernel _Z9scan_bcaoIiLi256EEvlPT_PKS0_
		.amdhsa_group_segment_fixed_size 2048
		.amdhsa_private_segment_fixed_size 0
		.amdhsa_kernarg_size 280
		.amdhsa_user_sgpr_count 6
		.amdhsa_user_sgpr_private_segment_buffer 1
		.amdhsa_user_sgpr_dispatch_ptr 0
		.amdhsa_user_sgpr_queue_ptr 0
		.amdhsa_user_sgpr_kernarg_segment_ptr 1
		.amdhsa_user_sgpr_dispatch_id 0
		.amdhsa_user_sgpr_flat_scratch_init 0
		.amdhsa_user_sgpr_private_segment_size 0
		.amdhsa_uses_dynamic_stack 0
		.amdhsa_system_sgpr_private_segment_wavefront_offset 0
		.amdhsa_system_sgpr_workgroup_id_x 1
		.amdhsa_system_sgpr_workgroup_id_y 0
		.amdhsa_system_sgpr_workgroup_id_z 0
		.amdhsa_system_sgpr_workgroup_info 0
		.amdhsa_system_vgpr_workitem_id 0
		.amdhsa_next_free_vgpr 29
		.amdhsa_next_free_sgpr 61
		.amdhsa_reserve_vcc 1
		.amdhsa_reserve_flat_scratch 0
		.amdhsa_float_round_mode_32 0
		.amdhsa_float_round_mode_16_64 0
		.amdhsa_float_denorm_mode_32 3
		.amdhsa_float_denorm_mode_16_64 3
		.amdhsa_dx10_clamp 1
		.amdhsa_ieee_mode 1
		.amdhsa_fp16_overflow 0
		.amdhsa_exception_fp_ieee_invalid_op 0
		.amdhsa_exception_fp_denorm_src 0
		.amdhsa_exception_fp_ieee_div_zero 0
		.amdhsa_exception_fp_ieee_overflow 0
		.amdhsa_exception_fp_ieee_underflow 0
		.amdhsa_exception_fp_ieee_inexact 0
		.amdhsa_exception_int_div_zero 0
	.end_amdhsa_kernel
	.section	.text._Z9scan_bcaoIiLi256EEvlPT_PKS0_,"axG",@progbits,_Z9scan_bcaoIiLi256EEvlPT_PKS0_,comdat
.Lfunc_end13:
	.size	_Z9scan_bcaoIiLi256EEvlPT_PKS0_, .Lfunc_end13-_Z9scan_bcaoIiLi256EEvlPT_PKS0_
                                        ; -- End function
	.set _Z9scan_bcaoIiLi256EEvlPT_PKS0_.num_vgpr, 23
	.set _Z9scan_bcaoIiLi256EEvlPT_PKS0_.num_agpr, 0
	.set _Z9scan_bcaoIiLi256EEvlPT_PKS0_.numbered_sgpr, 30
	.set _Z9scan_bcaoIiLi256EEvlPT_PKS0_.num_named_barrier, 0
	.set _Z9scan_bcaoIiLi256EEvlPT_PKS0_.private_seg_size, 0
	.set _Z9scan_bcaoIiLi256EEvlPT_PKS0_.uses_vcc, 1
	.set _Z9scan_bcaoIiLi256EEvlPT_PKS0_.uses_flat_scratch, 0
	.set _Z9scan_bcaoIiLi256EEvlPT_PKS0_.has_dyn_sized_stack, 0
	.set _Z9scan_bcaoIiLi256EEvlPT_PKS0_.has_recursion, 0
	.set _Z9scan_bcaoIiLi256EEvlPT_PKS0_.has_indirect_call, 0
	.section	.AMDGPU.csdata,"",@progbits
; Kernel info:
; codeLenInByte = 1648
; TotalNumSgprs: 34
; NumVgprs: 23
; ScratchSize: 0
; MemoryBound: 0
; FloatMode: 240
; IeeeMode: 1
; LDSByteSize: 2048 bytes/workgroup (compile time only)
; SGPRBlocks: 8
; VGPRBlocks: 7
; NumSGPRsForWavesPerEU: 65
; NumVGPRsForWavesPerEU: 29
; Occupancy: 8
; WaveLimiterHint : 1
; COMPUTE_PGM_RSRC2:SCRATCH_EN: 0
; COMPUTE_PGM_RSRC2:USER_SGPR: 6
; COMPUTE_PGM_RSRC2:TRAP_HANDLER: 0
; COMPUTE_PGM_RSRC2:TGID_X_EN: 1
; COMPUTE_PGM_RSRC2:TGID_Y_EN: 0
; COMPUTE_PGM_RSRC2:TGID_Z_EN: 0
; COMPUTE_PGM_RSRC2:TIDIG_COMP_CNT: 0
	.section	.text._Z4scanIlLi256EEvlPT_PKS0_,"axG",@progbits,_Z4scanIlLi256EEvlPT_PKS0_,comdat
	.protected	_Z4scanIlLi256EEvlPT_PKS0_ ; -- Begin function _Z4scanIlLi256EEvlPT_PKS0_
	.globl	_Z4scanIlLi256EEvlPT_PKS0_
	.p2align	8
	.type	_Z4scanIlLi256EEvlPT_PKS0_,@function
_Z4scanIlLi256EEvlPT_PKS0_:             ; @_Z4scanIlLi256EEvlPT_PKS0_
; %bb.0:
	s_load_dwordx2 s[24:25], s[4:5], 0x0
	s_mov_b32 s7, 0
	v_mov_b32_e32 v1, s6
	v_mov_b32_e32 v2, s7
	s_waitcnt lgkmcnt(0)
	v_cmp_le_i64_e32 vcc, s[24:25], v[1:2]
	s_cbranch_vccnz .LBB14_39
; %bb.1:
	v_lshlrev_b32_e32 v1, 1, v0
	v_or_b32_e32 v2, 1, v1
	v_add_u32_e32 v1, 2, v1
	s_load_dwordx4 s[20:23], s[4:5], 0x8
	s_load_dword s26, s[4:5], 0x18
	v_lshlrev_b32_e32 v3, 4, v2
	v_lshlrev_b32_e32 v4, 4, v1
	v_add_u32_e32 v7, -8, v3
	v_add_u32_e32 v8, -8, v4
	v_add_u32_e32 v9, v7, v3
	v_add_u32_e32 v10, v8, v4
	v_lshlrev_b32_e32 v6, 4, v0
	s_mov_b32 s27, s7
	s_movk_i32 s2, 0x80
	s_movk_i32 s4, 0x7f
	v_lshl_add_u32 v11, v2, 5, v9
	v_lshl_add_u32 v12, v1, 5, v10
	s_lshl_b64 s[28:29], s[6:7], 11
	v_cmp_eq_u32_e64 s[0:1], 0, v0
	v_cmp_gt_u32_e64 s[2:3], s2, v0
	v_cmp_lt_u32_e64 s[4:5], s4, v0
	v_cmp_gt_u32_e64 s[8:9], 64, v0
	v_cmp_gt_u32_e64 s[10:11], 32, v0
	;; [unrolled: 1-line block ×4, first 2 shown]
	v_lshl_add_u32 v13, v2, 6, v11
	v_lshl_add_u32 v14, v1, 6, v12
	v_cmp_gt_u32_e64 s[16:17], 4, v0
	v_cmp_gt_u32_e64 s[18:19], 2, v0
	v_mov_b32_e32 v0, s29
	v_add_co_u32_e32 v19, vcc, s28, v6
	s_waitcnt lgkmcnt(0)
	s_lshl_b64 s[28:29], s[26:27], 11
	v_lshl_add_u32 v15, v2, 7, v13
	v_lshl_add_u32 v16, v1, 7, v14
	s_add_u32 s27, s20, 8
	v_lshl_add_u32 v17, v2, 8, v15
	v_lshl_add_u32 v18, v1, 8, v16
	v_mov_b32_e32 v4, 0
	v_addc_co_u32_e32 v20, vcc, 0, v0, vcc
	s_addc_u32 s30, s21, 0
	v_mov_b32_e32 v21, s23
	s_branch .LBB14_3
.LBB14_2:                               ;   in Loop: Header=BB14_3 Depth=1
	s_or_b64 exec, exec, s[20:21]
	v_mov_b32_e32 v5, s30
	v_add_co_u32_e32 v22, vcc, s27, v19
	v_addc_co_u32_e32 v23, vcc, v5, v20, vcc
	s_waitcnt lgkmcnt(0)
	global_store_dwordx4 v[22:23], v[0:3], off offset:-8
	s_add_u32 s6, s6, s26
	v_mov_b32_e32 v0, s24
	s_addc_u32 s7, s7, 0
	v_mov_b32_e32 v1, s25
	v_cmp_ge_i64_e32 vcc, s[6:7], v[0:1]
	v_mov_b32_e32 v2, s29
	v_add_co_u32_e64 v19, s[20:21], s28, v19
	v_addc_co_u32_e64 v20, s[20:21], v20, v2, s[20:21]
	s_cbranch_vccnz .LBB14_39
.LBB14_3:                               ; =>This Inner Loop Header: Depth=1
	v_add_co_u32_e32 v0, vcc, s22, v19
	v_addc_co_u32_e32 v1, vcc, v21, v20, vcc
	global_load_dwordx4 v[0:3], v[0:1], off
	s_waitcnt vmcnt(0)
	ds_write_b128 v6, v[0:3]
	s_waitcnt lgkmcnt(0)
	s_barrier
	s_and_saveexec_b64 s[20:21], s[2:3]
	s_cbranch_execz .LBB14_5
; %bb.4:                                ;   in Loop: Header=BB14_3 Depth=1
	ds_read_b128 v[0:3], v6
	s_waitcnt lgkmcnt(0)
	v_add_co_u32_e32 v0, vcc, v2, v0
	v_addc_co_u32_e32 v1, vcc, v3, v1, vcc
	ds_write_b64 v6, v[0:1] offset:8
.LBB14_5:                               ;   in Loop: Header=BB14_3 Depth=1
	s_or_b64 exec, exec, s[20:21]
	s_waitcnt lgkmcnt(0)
	s_barrier
	s_and_saveexec_b64 s[20:21], s[8:9]
	s_cbranch_execz .LBB14_7
; %bb.6:                                ;   in Loop: Header=BB14_3 Depth=1
	ds_read_b64 v[0:1], v7
	ds_read_b64 v[2:3], v8
	s_waitcnt lgkmcnt(0)
	v_add_co_u32_e32 v0, vcc, v2, v0
	v_addc_co_u32_e32 v1, vcc, v3, v1, vcc
	ds_write_b64 v8, v[0:1]
.LBB14_7:                               ;   in Loop: Header=BB14_3 Depth=1
	s_or_b64 exec, exec, s[20:21]
	s_waitcnt lgkmcnt(0)
	s_barrier
	s_and_saveexec_b64 s[20:21], s[10:11]
	s_cbranch_execz .LBB14_9
; %bb.8:                                ;   in Loop: Header=BB14_3 Depth=1
	ds_read_b64 v[0:1], v9
	ds_read_b64 v[2:3], v10
	s_waitcnt lgkmcnt(0)
	v_add_co_u32_e32 v0, vcc, v2, v0
	v_addc_co_u32_e32 v1, vcc, v3, v1, vcc
	ds_write_b64 v10, v[0:1]
.LBB14_9:                               ;   in Loop: Header=BB14_3 Depth=1
	s_or_b64 exec, exec, s[20:21]
	s_waitcnt lgkmcnt(0)
	s_barrier
	s_and_saveexec_b64 s[20:21], s[12:13]
	s_cbranch_execz .LBB14_11
; %bb.10:                               ;   in Loop: Header=BB14_3 Depth=1
	ds_read_b64 v[0:1], v11
	ds_read_b64 v[2:3], v12
	s_waitcnt lgkmcnt(0)
	v_add_co_u32_e32 v0, vcc, v2, v0
	v_addc_co_u32_e32 v1, vcc, v3, v1, vcc
	ds_write_b64 v12, v[0:1]
.LBB14_11:                              ;   in Loop: Header=BB14_3 Depth=1
	s_or_b64 exec, exec, s[20:21]
	s_waitcnt lgkmcnt(0)
	s_barrier
	s_and_saveexec_b64 s[20:21], s[14:15]
	s_cbranch_execz .LBB14_13
; %bb.12:                               ;   in Loop: Header=BB14_3 Depth=1
	ds_read_b64 v[0:1], v13
	ds_read_b64 v[2:3], v14
	s_waitcnt lgkmcnt(0)
	v_add_co_u32_e32 v0, vcc, v2, v0
	v_addc_co_u32_e32 v1, vcc, v3, v1, vcc
	ds_write_b64 v14, v[0:1]
.LBB14_13:                              ;   in Loop: Header=BB14_3 Depth=1
	;; [unrolled: 13-line block ×4, first 2 shown]
	s_or_b64 exec, exec, s[20:21]
	s_waitcnt lgkmcnt(0)
	s_barrier
	s_and_saveexec_b64 s[20:21], s[0:1]
	s_cbranch_execz .LBB14_19
; %bb.18:                               ;   in Loop: Header=BB14_3 Depth=1
	ds_read2_b64 v[0:3], v4 offset0:127 offset1:255
	s_waitcnt lgkmcnt(0)
	v_add_co_u32_e32 v0, vcc, v2, v0
	v_addc_co_u32_e32 v1, vcc, v3, v1, vcc
	ds_write_b64 v4, v[0:1] offset:2040
.LBB14_19:                              ;   in Loop: Header=BB14_3 Depth=1
	s_or_b64 exec, exec, s[20:21]
	s_and_saveexec_b64 s[20:21], s[0:1]
; %bb.20:                               ;   in Loop: Header=BB14_3 Depth=1
	v_mov_b32_e32 v5, v4
	ds_write_b64 v4, v[4:5] offset:2040
; %bb.21:                               ;   in Loop: Header=BB14_3 Depth=1
	s_or_b64 exec, exec, s[20:21]
	s_waitcnt lgkmcnt(0)
	s_barrier
	s_and_saveexec_b64 s[20:21], s[0:1]
	s_cbranch_execz .LBB14_23
; %bb.22:                               ;   in Loop: Header=BB14_3 Depth=1
	ds_read2_b64 v[0:3], v4 offset0:127 offset1:255
	s_waitcnt lgkmcnt(0)
	v_add_co_u32_e32 v0, vcc, v2, v0
	v_addc_co_u32_e32 v1, vcc, v3, v1, vcc
	ds_write2_b64 v4, v[2:3], v[0:1] offset0:127 offset1:255
.LBB14_23:                              ;   in Loop: Header=BB14_3 Depth=1
	s_or_b64 exec, exec, s[20:21]
	s_waitcnt lgkmcnt(0)
	s_barrier
	s_and_saveexec_b64 s[20:21], s[18:19]
	s_cbranch_execz .LBB14_25
; %bb.24:                               ;   in Loop: Header=BB14_3 Depth=1
	ds_read_b64 v[0:1], v18
	ds_read_b64 v[2:3], v17
	s_waitcnt lgkmcnt(1)
	ds_write_b64 v17, v[0:1]
	s_waitcnt lgkmcnt(1)
	v_add_co_u32_e32 v0, vcc, v0, v2
	v_addc_co_u32_e32 v1, vcc, v1, v3, vcc
	ds_write_b64 v18, v[0:1]
.LBB14_25:                              ;   in Loop: Header=BB14_3 Depth=1
	s_or_b64 exec, exec, s[20:21]
	s_waitcnt lgkmcnt(0)
	s_barrier
	s_and_saveexec_b64 s[20:21], s[16:17]
	s_cbranch_execz .LBB14_27
; %bb.26:                               ;   in Loop: Header=BB14_3 Depth=1
	ds_read_b64 v[0:1], v16
	ds_read_b64 v[2:3], v15
	s_waitcnt lgkmcnt(1)
	ds_write_b64 v15, v[0:1]
	s_waitcnt lgkmcnt(1)
	v_add_co_u32_e32 v0, vcc, v0, v2
	v_addc_co_u32_e32 v1, vcc, v1, v3, vcc
	ds_write_b64 v16, v[0:1]
.LBB14_27:                              ;   in Loop: Header=BB14_3 Depth=1
	;; [unrolled: 15-line block ×6, first 2 shown]
	s_or_b64 exec, exec, s[20:21]
	s_waitcnt lgkmcnt(0)
	s_barrier
                                        ; implicit-def: $vgpr0_vgpr1
	s_and_saveexec_b64 s[20:21], s[4:5]
	s_xor_b64 s[20:21], exec, s[20:21]
; %bb.36:                               ;   in Loop: Header=BB14_3 Depth=1
	ds_read_b128 v[0:3], v6
; %bb.37:                               ;   in Loop: Header=BB14_3 Depth=1
	s_andn2_saveexec_b64 s[20:21], s[20:21]
	s_cbranch_execz .LBB14_2
; %bb.38:                               ;   in Loop: Header=BB14_3 Depth=1
	ds_read_b128 v[22:25], v6
	s_waitcnt lgkmcnt(0)
	v_add_co_u32_e32 v2, vcc, v24, v22
	v_addc_co_u32_e32 v3, vcc, v25, v23, vcc
	v_mov_b32_e32 v0, v24
	v_mov_b32_e32 v1, v25
	ds_write_b128 v6, v[0:3]
	v_mov_b32_e32 v0, v24
	v_mov_b32_e32 v1, v25
	s_branch .LBB14_2
.LBB14_39:
	s_endpgm
	.section	.rodata,"a",@progbits
	.p2align	6, 0x0
	.amdhsa_kernel _Z4scanIlLi256EEvlPT_PKS0_
		.amdhsa_group_segment_fixed_size 2048
		.amdhsa_private_segment_fixed_size 0
		.amdhsa_kernarg_size 280
		.amdhsa_user_sgpr_count 6
		.amdhsa_user_sgpr_private_segment_buffer 1
		.amdhsa_user_sgpr_dispatch_ptr 0
		.amdhsa_user_sgpr_queue_ptr 0
		.amdhsa_user_sgpr_kernarg_segment_ptr 1
		.amdhsa_user_sgpr_dispatch_id 0
		.amdhsa_user_sgpr_flat_scratch_init 0
		.amdhsa_user_sgpr_private_segment_size 0
		.amdhsa_uses_dynamic_stack 0
		.amdhsa_system_sgpr_private_segment_wavefront_offset 0
		.amdhsa_system_sgpr_workgroup_id_x 1
		.amdhsa_system_sgpr_workgroup_id_y 0
		.amdhsa_system_sgpr_workgroup_id_z 0
		.amdhsa_system_sgpr_workgroup_info 0
		.amdhsa_system_vgpr_workitem_id 0
		.amdhsa_next_free_vgpr 29
		.amdhsa_next_free_sgpr 61
		.amdhsa_reserve_vcc 1
		.amdhsa_reserve_flat_scratch 0
		.amdhsa_float_round_mode_32 0
		.amdhsa_float_round_mode_16_64 0
		.amdhsa_float_denorm_mode_32 3
		.amdhsa_float_denorm_mode_16_64 3
		.amdhsa_dx10_clamp 1
		.amdhsa_ieee_mode 1
		.amdhsa_fp16_overflow 0
		.amdhsa_exception_fp_ieee_invalid_op 0
		.amdhsa_exception_fp_denorm_src 0
		.amdhsa_exception_fp_ieee_div_zero 0
		.amdhsa_exception_fp_ieee_overflow 0
		.amdhsa_exception_fp_ieee_underflow 0
		.amdhsa_exception_fp_ieee_inexact 0
		.amdhsa_exception_int_div_zero 0
	.end_amdhsa_kernel
	.section	.text._Z4scanIlLi256EEvlPT_PKS0_,"axG",@progbits,_Z4scanIlLi256EEvlPT_PKS0_,comdat
.Lfunc_end14:
	.size	_Z4scanIlLi256EEvlPT_PKS0_, .Lfunc_end14-_Z4scanIlLi256EEvlPT_PKS0_
                                        ; -- End function
	.set _Z4scanIlLi256EEvlPT_PKS0_.num_vgpr, 26
	.set _Z4scanIlLi256EEvlPT_PKS0_.num_agpr, 0
	.set _Z4scanIlLi256EEvlPT_PKS0_.numbered_sgpr, 31
	.set _Z4scanIlLi256EEvlPT_PKS0_.num_named_barrier, 0
	.set _Z4scanIlLi256EEvlPT_PKS0_.private_seg_size, 0
	.set _Z4scanIlLi256EEvlPT_PKS0_.uses_vcc, 1
	.set _Z4scanIlLi256EEvlPT_PKS0_.uses_flat_scratch, 0
	.set _Z4scanIlLi256EEvlPT_PKS0_.has_dyn_sized_stack, 0
	.set _Z4scanIlLi256EEvlPT_PKS0_.has_recursion, 0
	.set _Z4scanIlLi256EEvlPT_PKS0_.has_indirect_call, 0
	.section	.AMDGPU.csdata,"",@progbits
; Kernel info:
; codeLenInByte = 1372
; TotalNumSgprs: 35
; NumVgprs: 26
; ScratchSize: 0
; MemoryBound: 0
; FloatMode: 240
; IeeeMode: 1
; LDSByteSize: 2048 bytes/workgroup (compile time only)
; SGPRBlocks: 8
; VGPRBlocks: 7
; NumSGPRsForWavesPerEU: 65
; NumVGPRsForWavesPerEU: 29
; Occupancy: 8
; WaveLimiterHint : 0
; COMPUTE_PGM_RSRC2:SCRATCH_EN: 0
; COMPUTE_PGM_RSRC2:USER_SGPR: 6
; COMPUTE_PGM_RSRC2:TRAP_HANDLER: 0
; COMPUTE_PGM_RSRC2:TGID_X_EN: 1
; COMPUTE_PGM_RSRC2:TGID_Y_EN: 0
; COMPUTE_PGM_RSRC2:TGID_Z_EN: 0
; COMPUTE_PGM_RSRC2:TIDIG_COMP_CNT: 0
	.section	.text._Z9scan_bcaoIlLi256EEvlPT_PKS0_,"axG",@progbits,_Z9scan_bcaoIlLi256EEvlPT_PKS0_,comdat
	.protected	_Z9scan_bcaoIlLi256EEvlPT_PKS0_ ; -- Begin function _Z9scan_bcaoIlLi256EEvlPT_PKS0_
	.globl	_Z9scan_bcaoIlLi256EEvlPT_PKS0_
	.p2align	8
	.type	_Z9scan_bcaoIlLi256EEvlPT_PKS0_,@function
_Z9scan_bcaoIlLi256EEvlPT_PKS0_:        ; @_Z9scan_bcaoIlLi256EEvlPT_PKS0_
; %bb.0:
	s_load_dwordx2 s[24:25], s[4:5], 0x0
	s_mov_b32 s7, 0
	v_mov_b32_e32 v1, s6
	v_mov_b32_e32 v2, s7
	s_waitcnt lgkmcnt(0)
	v_cmp_le_i64_e32 vcc, s[24:25], v[1:2]
	s_cbranch_vccnz .LBB15_37
; %bb.1:
	v_add_u32_e32 v1, 0x80, v0
	v_lshrrev_b32_e32 v1, 2, v1
	v_lshlrev_b32_e32 v18, 3, v0
	v_and_b32_e32 v1, 0x1f8, v1
	v_add_u32_e32 v3, v18, v1
	v_lshlrev_b32_e32 v1, 1, v0
	v_or_b32_e32 v15, 1, v1
	v_add_u32_e32 v1, 2, v1
	v_lshlrev_b32_e32 v7, 1, v15
	v_lshlrev_b32_e32 v9, 1, v1
	v_add_u32_e32 v8, -1, v7
	v_add_u32_e32 v10, -1, v9
	v_lshrrev_b32_e32 v6, 2, v10
	v_add_u32_e32 v12, v8, v7
	v_lshrrev_b32_e32 v5, 2, v8
	v_lshlrev_b32_e32 v11, 3, v10
	v_and_b32_e32 v6, 0x3ffffff8, v6
	v_lshrrev_b32_e32 v7, 2, v12
	v_lshlrev_b32_e32 v13, 4, v1
	v_and_b32_e32 v5, 0x3f8, v5
	v_add_u32_e32 v6, v11, v6
	v_add_u32_e32 v9, v10, v9
	v_and_b32_e32 v7, 0x3ffffff8, v7
	v_add_u32_e32 v10, v11, v13
	v_lshl_add_u32 v11, v15, 2, v12
	v_lshl_add_u32 v5, v8, 3, v5
	;; [unrolled: 1-line block ×3, first 2 shown]
	v_lshrrev_b32_e32 v8, 2, v9
	v_lshl_add_u32 v12, v1, 2, v9
	v_lshrrev_b32_e32 v9, 2, v11
	v_and_b32_e32 v9, 0x3ffffff8, v9
	v_lshl_add_u32 v19, v15, 3, v11
	s_load_dwordx4 s[20:23], s[4:5], 0x8
	s_load_dword s26, s[4:5], 0x18
	v_lshl_add_u32 v9, v11, 3, v9
	v_lshrrev_b32_e32 v11, 2, v19
	v_and_b32_e32 v8, 0x3ffffff8, v8
	v_lshlrev_b32_e32 v16, 5, v1
	v_lshl_add_u32 v20, v1, 3, v12
	v_and_b32_e32 v11, 0x3ffffff8, v11
	v_add_u32_e32 v8, v10, v8
	v_add_u32_e32 v14, v10, v16
	v_lshrrev_b32_e32 v10, 2, v12
	v_lshl_add_u32 v11, v19, 3, v11
	v_lshrrev_b32_e32 v12, 2, v20
	v_lshl_add_u32 v19, v15, 4, v19
	v_add_u32_e32 v20, v20, v13
	v_and_b32_e32 v10, 0x3ffffff8, v10
	v_lshrrev_b32_e32 v13, 2, v19
	v_add_u32_e32 v16, v20, v16
	v_lshrrev_b32_e32 v2, 2, v0
	s_mov_b32 s27, s7
	v_lshrrev_b32_e32 v4, 1, v0
	v_add_u32_e32 v10, v14, v10
	v_lshl_add_u32 v14, v1, 6, v14
	v_and_b32_e32 v12, 0x3ffffff8, v12
	v_and_b32_e32 v13, 0x3ffffff8, v13
	v_lshl_add_u32 v15, v15, 5, v19
	v_lshrrev_b32_e32 v16, 2, v16
	v_and_b32_e32 v2, 0xf8, v2
	v_and_b32_e32 v17, 0x1f8, v4
	v_add_u32_e32 v12, v14, v12
	v_lshl_add_u32 v13, v19, 3, v13
	v_lshl_add_u32 v21, v1, 7, v14
	v_lshrrev_b32_e32 v14, 2, v20
	v_lshrrev_b32_e32 v19, 2, v15
	v_lshlrev_b32_e32 v1, 8, v1
	v_and_b32_e32 v16, 0x3ffffff8, v16
	s_lshl_b64 s[18:19], s[6:7], 11
	s_waitcnt lgkmcnt(0)
	s_lshl_b64 s[28:29], s[26:27], 11
	s_movk_i32 s2, 0x80
	v_add_u32_e32 v2, v18, v2
	v_add3_u32 v4, v18, v18, v17
	v_and_b32_e32 v14, 0x3ffffff8, v14
	v_and_b32_e32 v19, 0x3ffffff8, v19
	v_add3_u32 v16, v21, v1, v16
	v_mov_b32_e32 v1, s19
	v_add_co_u32_e32 v18, vcc, s18, v18
	s_add_u32 s20, s20, 0x400
	v_cmp_eq_u32_e64 s[0:1], 0, v0
	v_cmp_gt_u32_e64 s[2:3], s2, v0
	v_cmp_gt_u32_e64 s[4:5], 64, v0
	;; [unrolled: 1-line block ×6, first 2 shown]
	v_add_u32_e32 v14, v21, v14
	v_cmp_gt_u32_e64 s[16:17], 2, v0
	v_lshl_add_u32 v15, v15, 3, v19
	v_lshl_add_u32 v17, v0, 4, v17
	v_mov_b32_e32 v0, 0
	v_addc_co_u32_e32 v19, vcc, 0, v1, vcc
	s_addc_u32 s21, s21, 0
	v_mov_b32_e32 v20, s23
	s_movk_i32 s23, 0x400
	s_branch .LBB15_3
.LBB15_2:                               ;   in Loop: Header=BB15_3 Depth=1
	s_or_b64 exec, exec, s[18:19]
	s_waitcnt lgkmcnt(0)
	s_barrier
	ds_read_b64 v[21:22], v2
	ds_read_b64 v[23:24], v3 offset:1024
	v_mov_b32_e32 v1, s21
	v_add_co_u32_e32 v25, vcc, s20, v18
	v_addc_co_u32_e32 v26, vcc, v1, v19, vcc
	s_waitcnt lgkmcnt(1)
	global_store_dwordx2 v[25:26], v[21:22], off offset:-1024
	s_waitcnt lgkmcnt(0)
	global_store_dwordx2 v[25:26], v[23:24], off
	s_add_u32 s6, s6, s26
	v_mov_b32_e32 v21, s24
	s_addc_u32 s7, s7, 0
	v_mov_b32_e32 v22, s25
	v_cmp_ge_i64_e32 vcc, s[6:7], v[21:22]
	v_mov_b32_e32 v1, s29
	v_add_co_u32_e64 v18, s[18:19], s28, v18
	v_addc_co_u32_e64 v19, s[18:19], v19, v1, s[18:19]
	s_cbranch_vccnz .LBB15_37
.LBB15_3:                               ; =>This Inner Loop Header: Depth=1
	v_add_co_u32_e32 v21, vcc, s22, v18
	v_addc_co_u32_e32 v22, vcc, v20, v19, vcc
	global_load_dwordx2 v[23:24], v[21:22], off
	global_load_dwordx2 v[25:26], v[21:22], off offset:1024
	s_waitcnt vmcnt(1)
	ds_write_b64 v2, v[23:24]
	s_waitcnt vmcnt(0)
	ds_write_b64 v3, v[25:26] offset:1024
	s_waitcnt lgkmcnt(0)
	s_barrier
	s_and_saveexec_b64 s[18:19], s[2:3]
	s_cbranch_execz .LBB15_5
; %bb.4:                                ;   in Loop: Header=BB15_3 Depth=1
	ds_read2_b64 v[21:24], v4 offset1:1
	s_waitcnt lgkmcnt(0)
	v_add_co_u32_e32 v21, vcc, v23, v21
	v_addc_co_u32_e32 v22, vcc, v24, v22, vcc
	ds_write_b64 v4, v[21:22] offset:8
.LBB15_5:                               ;   in Loop: Header=BB15_3 Depth=1
	s_or_b64 exec, exec, s[18:19]
	s_waitcnt lgkmcnt(0)
	s_barrier
	s_and_saveexec_b64 s[18:19], s[4:5]
	s_cbranch_execz .LBB15_7
; %bb.6:                                ;   in Loop: Header=BB15_3 Depth=1
	ds_read_b64 v[21:22], v5
	ds_read_b64 v[23:24], v6
	s_waitcnt lgkmcnt(0)
	v_add_co_u32_e32 v21, vcc, v23, v21
	v_addc_co_u32_e32 v22, vcc, v24, v22, vcc
	ds_write_b64 v6, v[21:22]
.LBB15_7:                               ;   in Loop: Header=BB15_3 Depth=1
	s_or_b64 exec, exec, s[18:19]
	s_waitcnt lgkmcnt(0)
	s_barrier
	s_and_saveexec_b64 s[18:19], s[8:9]
	s_cbranch_execz .LBB15_9
; %bb.8:                                ;   in Loop: Header=BB15_3 Depth=1
	ds_read_b64 v[21:22], v7
	ds_read_b64 v[23:24], v8
	s_waitcnt lgkmcnt(0)
	v_add_co_u32_e32 v21, vcc, v23, v21
	v_addc_co_u32_e32 v22, vcc, v24, v22, vcc
	ds_write_b64 v8, v[21:22]
.LBB15_9:                               ;   in Loop: Header=BB15_3 Depth=1
	s_or_b64 exec, exec, s[18:19]
	s_waitcnt lgkmcnt(0)
	s_barrier
	s_and_saveexec_b64 s[18:19], s[10:11]
	s_cbranch_execz .LBB15_11
; %bb.10:                               ;   in Loop: Header=BB15_3 Depth=1
	ds_read_b64 v[21:22], v9
	ds_read_b64 v[23:24], v10
	s_waitcnt lgkmcnt(0)
	v_add_co_u32_e32 v21, vcc, v23, v21
	v_addc_co_u32_e32 v22, vcc, v24, v22, vcc
	ds_write_b64 v10, v[21:22]
.LBB15_11:                              ;   in Loop: Header=BB15_3 Depth=1
	s_or_b64 exec, exec, s[18:19]
	s_waitcnt lgkmcnt(0)
	s_barrier
	s_and_saveexec_b64 s[18:19], s[12:13]
	s_cbranch_execz .LBB15_13
; %bb.12:                               ;   in Loop: Header=BB15_3 Depth=1
	ds_read_b64 v[21:22], v11
	ds_read_b64 v[23:24], v12
	s_waitcnt lgkmcnt(0)
	v_add_co_u32_e32 v21, vcc, v23, v21
	v_addc_co_u32_e32 v22, vcc, v24, v22, vcc
	ds_write_b64 v12, v[21:22]
.LBB15_13:                              ;   in Loop: Header=BB15_3 Depth=1
	;; [unrolled: 13-line block ×4, first 2 shown]
	s_or_b64 exec, exec, s[18:19]
	v_add_u32_e64 v21, s23, 0
	s_waitcnt lgkmcnt(0)
	s_barrier
	s_and_saveexec_b64 s[18:19], s[0:1]
	s_cbranch_execz .LBB15_19
; %bb.18:                               ;   in Loop: Header=BB15_3 Depth=1
	ds_read2_b64 v[22:25], v21 offset0:2 offset1:134
	s_waitcnt lgkmcnt(0)
	v_add_co_u32_e32 v22, vcc, v24, v22
	v_addc_co_u32_e32 v23, vcc, v25, v23, vcc
	ds_write_b64 v0, v[22:23] offset:2096
.LBB15_19:                              ;   in Loop: Header=BB15_3 Depth=1
	s_or_b64 exec, exec, s[18:19]
	s_and_saveexec_b64 s[18:19], s[0:1]
; %bb.20:                               ;   in Loop: Header=BB15_3 Depth=1
	v_mov_b32_e32 v1, v0
	ds_write_b64 v0, v[0:1] offset:2096
; %bb.21:                               ;   in Loop: Header=BB15_3 Depth=1
	s_or_b64 exec, exec, s[18:19]
	s_waitcnt lgkmcnt(0)
	s_barrier
	s_and_saveexec_b64 s[18:19], s[0:1]
	s_cbranch_execz .LBB15_23
; %bb.22:                               ;   in Loop: Header=BB15_3 Depth=1
	ds_read2_b64 v[22:25], v21 offset0:2 offset1:134
	s_waitcnt lgkmcnt(0)
	v_add_co_u32_e32 v22, vcc, v24, v22
	v_addc_co_u32_e32 v23, vcc, v25, v23, vcc
	ds_write2_b64 v21, v[24:25], v[22:23] offset0:2 offset1:134
.LBB15_23:                              ;   in Loop: Header=BB15_3 Depth=1
	s_or_b64 exec, exec, s[18:19]
	s_waitcnt lgkmcnt(0)
	s_barrier
	s_and_saveexec_b64 s[18:19], s[16:17]
	s_cbranch_execz .LBB15_25
; %bb.24:                               ;   in Loop: Header=BB15_3 Depth=1
	ds_read_b64 v[21:22], v16
	ds_read_b64 v[23:24], v15
	s_waitcnt lgkmcnt(1)
	ds_write_b64 v15, v[21:22]
	s_waitcnt lgkmcnt(1)
	v_add_co_u32_e32 v21, vcc, v21, v23
	v_addc_co_u32_e32 v22, vcc, v22, v24, vcc
	ds_write_b64 v16, v[21:22]
.LBB15_25:                              ;   in Loop: Header=BB15_3 Depth=1
	s_or_b64 exec, exec, s[18:19]
	s_waitcnt lgkmcnt(0)
	s_barrier
	s_and_saveexec_b64 s[18:19], s[14:15]
	s_cbranch_execz .LBB15_27
; %bb.26:                               ;   in Loop: Header=BB15_3 Depth=1
	ds_read_b64 v[21:22], v14
	ds_read_b64 v[23:24], v13
	s_waitcnt lgkmcnt(1)
	ds_write_b64 v13, v[21:22]
	s_waitcnt lgkmcnt(1)
	v_add_co_u32_e32 v21, vcc, v21, v23
	v_addc_co_u32_e32 v22, vcc, v22, v24, vcc
	ds_write_b64 v14, v[21:22]
.LBB15_27:                              ;   in Loop: Header=BB15_3 Depth=1
	;; [unrolled: 15-line block ×6, first 2 shown]
	s_or_b64 exec, exec, s[18:19]
	s_waitcnt lgkmcnt(0)
	s_barrier
	s_and_saveexec_b64 s[18:19], s[2:3]
	s_cbranch_execz .LBB15_2
; %bb.36:                               ;   in Loop: Header=BB15_3 Depth=1
	ds_read2_b64 v[21:24], v17 offset1:1
	s_waitcnt lgkmcnt(0)
	v_add_co_u32_e32 v21, vcc, v23, v21
	v_addc_co_u32_e32 v22, vcc, v24, v22, vcc
	ds_write2_b64 v17, v[23:24], v[21:22] offset1:1
	s_branch .LBB15_2
.LBB15_37:
	s_endpgm
	.section	.rodata,"a",@progbits
	.p2align	6, 0x0
	.amdhsa_kernel _Z9scan_bcaoIlLi256EEvlPT_PKS0_
		.amdhsa_group_segment_fixed_size 4096
		.amdhsa_private_segment_fixed_size 0
		.amdhsa_kernarg_size 280
		.amdhsa_user_sgpr_count 6
		.amdhsa_user_sgpr_private_segment_buffer 1
		.amdhsa_user_sgpr_dispatch_ptr 0
		.amdhsa_user_sgpr_queue_ptr 0
		.amdhsa_user_sgpr_kernarg_segment_ptr 1
		.amdhsa_user_sgpr_dispatch_id 0
		.amdhsa_user_sgpr_flat_scratch_init 0
		.amdhsa_user_sgpr_private_segment_size 0
		.amdhsa_uses_dynamic_stack 0
		.amdhsa_system_sgpr_private_segment_wavefront_offset 0
		.amdhsa_system_sgpr_workgroup_id_x 1
		.amdhsa_system_sgpr_workgroup_id_y 0
		.amdhsa_system_sgpr_workgroup_id_z 0
		.amdhsa_system_sgpr_workgroup_info 0
		.amdhsa_system_vgpr_workitem_id 0
		.amdhsa_next_free_vgpr 29
		.amdhsa_next_free_sgpr 61
		.amdhsa_reserve_vcc 1
		.amdhsa_reserve_flat_scratch 0
		.amdhsa_float_round_mode_32 0
		.amdhsa_float_round_mode_16_64 0
		.amdhsa_float_denorm_mode_32 3
		.amdhsa_float_denorm_mode_16_64 3
		.amdhsa_dx10_clamp 1
		.amdhsa_ieee_mode 1
		.amdhsa_fp16_overflow 0
		.amdhsa_exception_fp_ieee_invalid_op 0
		.amdhsa_exception_fp_denorm_src 0
		.amdhsa_exception_fp_ieee_div_zero 0
		.amdhsa_exception_fp_ieee_overflow 0
		.amdhsa_exception_fp_ieee_underflow 0
		.amdhsa_exception_fp_ieee_inexact 0
		.amdhsa_exception_int_div_zero 0
	.end_amdhsa_kernel
	.section	.text._Z9scan_bcaoIlLi256EEvlPT_PKS0_,"axG",@progbits,_Z9scan_bcaoIlLi256EEvlPT_PKS0_,comdat
.Lfunc_end15:
	.size	_Z9scan_bcaoIlLi256EEvlPT_PKS0_, .Lfunc_end15-_Z9scan_bcaoIlLi256EEvlPT_PKS0_
                                        ; -- End function
	.set _Z9scan_bcaoIlLi256EEvlPT_PKS0_.num_vgpr, 27
	.set _Z9scan_bcaoIlLi256EEvlPT_PKS0_.num_agpr, 0
	.set _Z9scan_bcaoIlLi256EEvlPT_PKS0_.numbered_sgpr, 30
	.set _Z9scan_bcaoIlLi256EEvlPT_PKS0_.num_named_barrier, 0
	.set _Z9scan_bcaoIlLi256EEvlPT_PKS0_.private_seg_size, 0
	.set _Z9scan_bcaoIlLi256EEvlPT_PKS0_.uses_vcc, 1
	.set _Z9scan_bcaoIlLi256EEvlPT_PKS0_.uses_flat_scratch, 0
	.set _Z9scan_bcaoIlLi256EEvlPT_PKS0_.has_dyn_sized_stack, 0
	.set _Z9scan_bcaoIlLi256EEvlPT_PKS0_.has_recursion, 0
	.set _Z9scan_bcaoIlLi256EEvlPT_PKS0_.has_indirect_call, 0
	.section	.AMDGPU.csdata,"",@progbits
; Kernel info:
; codeLenInByte = 1720
; TotalNumSgprs: 34
; NumVgprs: 27
; ScratchSize: 0
; MemoryBound: 0
; FloatMode: 240
; IeeeMode: 1
; LDSByteSize: 4096 bytes/workgroup (compile time only)
; SGPRBlocks: 8
; VGPRBlocks: 7
; NumSGPRsForWavesPerEU: 65
; NumVGPRsForWavesPerEU: 29
; Occupancy: 8
; WaveLimiterHint : 1
; COMPUTE_PGM_RSRC2:SCRATCH_EN: 0
; COMPUTE_PGM_RSRC2:USER_SGPR: 6
; COMPUTE_PGM_RSRC2:TRAP_HANDLER: 0
; COMPUTE_PGM_RSRC2:TGID_X_EN: 1
; COMPUTE_PGM_RSRC2:TGID_Y_EN: 0
; COMPUTE_PGM_RSRC2:TGID_Z_EN: 0
; COMPUTE_PGM_RSRC2:TIDIG_COMP_CNT: 0
	.section	.text._Z4scanIcLi512EEvlPT_PKS0_,"axG",@progbits,_Z4scanIcLi512EEvlPT_PKS0_,comdat
	.protected	_Z4scanIcLi512EEvlPT_PKS0_ ; -- Begin function _Z4scanIcLi512EEvlPT_PKS0_
	.globl	_Z4scanIcLi512EEvlPT_PKS0_
	.p2align	8
	.type	_Z4scanIcLi512EEvlPT_PKS0_,@function
_Z4scanIcLi512EEvlPT_PKS0_:             ; @_Z4scanIcLi512EEvlPT_PKS0_
; %bb.0:
	s_load_dwordx2 s[28:29], s[4:5], 0x0
	s_mov_b32 s7, 0
	v_mov_b32_e32 v1, s6
	v_mov_b32_e32 v2, s7
	s_waitcnt lgkmcnt(0)
	v_cmp_le_i64_e32 vcc, s[28:29], v[1:2]
	s_cbranch_vccnz .LBB16_43
; %bb.1:
	v_lshlrev_b32_e32 v1, 1, v0
	v_or_b32_e32 v15, 1, v1
	v_add_u32_e32 v16, 2, v1
	v_lshlrev_b32_e32 v5, 1, v15
	v_lshlrev_b32_e32 v6, 1, v16
	s_load_dwordx4 s[24:27], s[4:5], 0x8
	s_load_dword s30, s[4:5], 0x18
	v_add_u32_e32 v3, -1, v5
	v_add_u32_e32 v4, -1, v6
	v_add_u32_e32 v5, v3, v5
	v_add_u32_e32 v6, v4, v6
	v_lshl_add_u32 v7, v15, 2, v5
	v_lshl_add_u32 v8, v16, 2, v6
	;; [unrolled: 1-line block ×4, first 2 shown]
	s_mov_b32 s31, s7
	v_lshl_add_u32 v11, v15, 4, v9
	v_lshl_add_u32 v12, v16, 4, v10
	s_movk_i32 s2, 0x100
	s_movk_i32 s4, 0xff
	;; [unrolled: 1-line block ×3, first 2 shown]
	v_lshl_add_u32 v13, v15, 5, v11
	v_lshl_add_u32 v14, v16, 5, v12
	s_lshl_b64 s[22:23], s[6:7], 9
	s_waitcnt lgkmcnt(0)
	s_lshl_b64 s[34:35], s[30:31], 9
	v_cmp_eq_u32_e64 s[0:1], 0, v0
	v_cmp_gt_u32_e64 s[2:3], s2, v0
	v_cmp_lt_u32_e64 s[4:5], s4, v0
	v_cmp_gt_u32_e64 s[8:9], s8, v0
	v_cmp_gt_u32_e64 s[10:11], 64, v0
	;; [unrolled: 1-line block ×7, first 2 shown]
	v_lshl_add_u32 v0, v15, 6, v13
	v_lshl_add_u32 v15, v16, 6, v14
	v_mov_b32_e32 v17, s23
	v_add_co_u32_e32 v16, vcc, s22, v1
	s_add_u32 s24, s24, 1
	v_mov_b32_e32 v2, 0
	v_addc_co_u32_e32 v17, vcc, 0, v17, vcc
	s_addc_u32 s25, s25, 0
	v_mov_b32_e32 v18, s27
	s_branch .LBB16_3
.LBB16_2:                               ;   in Loop: Header=BB16_3 Depth=1
	s_or_b64 exec, exec, s[22:23]
	v_mov_b32_e32 v22, s25
	v_add_co_u32_e32 v21, vcc, s24, v16
	v_lshlrev_b16_e32 v20, 8, v20
	v_addc_co_u32_e32 v22, vcc, v22, v17, vcc
	v_or_b32_sdwa v19, v19, v20 dst_sel:DWORD dst_unused:UNUSED_PAD src0_sel:BYTE_0 src1_sel:DWORD
	global_store_short v[21:22], v19, off offset:-1
	s_add_u32 s6, s6, s30
	v_mov_b32_e32 v19, s28
	s_addc_u32 s7, s7, 0
	v_mov_b32_e32 v20, s29
	v_cmp_ge_i64_e32 vcc, s[6:7], v[19:20]
	v_mov_b32_e32 v21, s35
	v_add_co_u32_e64 v16, s[22:23], s34, v16
	v_addc_co_u32_e64 v17, s[22:23], v17, v21, s[22:23]
	s_cbranch_vccnz .LBB16_43
.LBB16_3:                               ; =>This Inner Loop Header: Depth=1
	v_add_co_u32_e32 v19, vcc, s26, v16
	v_addc_co_u32_e32 v20, vcc, v18, v17, vcc
	global_load_ushort v19, v[19:20], off
	s_waitcnt vmcnt(0)
	ds_write_b16 v1, v19
	s_waitcnt lgkmcnt(0)
	s_barrier
	s_and_saveexec_b64 s[22:23], s[2:3]
	s_cbranch_execz .LBB16_5
; %bb.4:                                ;   in Loop: Header=BB16_3 Depth=1
	ds_read_u16 v19, v1
	s_waitcnt lgkmcnt(0)
	v_add_u16_sdwa v19, v19, v19 dst_sel:DWORD dst_unused:UNUSED_PAD src0_sel:BYTE_1 src1_sel:DWORD
	ds_write_b8 v1, v19 offset:1
.LBB16_5:                               ;   in Loop: Header=BB16_3 Depth=1
	s_or_b64 exec, exec, s[22:23]
	s_waitcnt lgkmcnt(0)
	s_barrier
	s_and_saveexec_b64 s[22:23], s[8:9]
	s_cbranch_execz .LBB16_7
; %bb.6:                                ;   in Loop: Header=BB16_3 Depth=1
	ds_read_u8 v19, v3
	ds_read_u8 v20, v4
	s_waitcnt lgkmcnt(0)
	v_add_u16_e32 v19, v20, v19
	ds_write_b8 v4, v19
.LBB16_7:                               ;   in Loop: Header=BB16_3 Depth=1
	s_or_b64 exec, exec, s[22:23]
	s_waitcnt lgkmcnt(0)
	s_barrier
	s_and_saveexec_b64 s[22:23], s[10:11]
	s_cbranch_execz .LBB16_9
; %bb.8:                                ;   in Loop: Header=BB16_3 Depth=1
	ds_read_u8 v19, v5
	ds_read_u8 v20, v6
	s_waitcnt lgkmcnt(0)
	v_add_u16_e32 v19, v20, v19
	ds_write_b8 v6, v19
.LBB16_9:                               ;   in Loop: Header=BB16_3 Depth=1
	s_or_b64 exec, exec, s[22:23]
	s_waitcnt lgkmcnt(0)
	s_barrier
	s_and_saveexec_b64 s[22:23], s[12:13]
	s_cbranch_execz .LBB16_11
; %bb.10:                               ;   in Loop: Header=BB16_3 Depth=1
	ds_read_u8 v19, v7
	ds_read_u8 v20, v8
	s_waitcnt lgkmcnt(0)
	v_add_u16_e32 v19, v20, v19
	ds_write_b8 v8, v19
.LBB16_11:                              ;   in Loop: Header=BB16_3 Depth=1
	s_or_b64 exec, exec, s[22:23]
	s_waitcnt lgkmcnt(0)
	s_barrier
	s_and_saveexec_b64 s[22:23], s[14:15]
	s_cbranch_execz .LBB16_13
; %bb.12:                               ;   in Loop: Header=BB16_3 Depth=1
	ds_read_u8 v19, v9
	ds_read_u8 v20, v10
	s_waitcnt lgkmcnt(0)
	v_add_u16_e32 v19, v20, v19
	ds_write_b8 v10, v19
.LBB16_13:                              ;   in Loop: Header=BB16_3 Depth=1
	;; [unrolled: 12-line block ×5, first 2 shown]
	s_or_b64 exec, exec, s[22:23]
	s_waitcnt lgkmcnt(0)
	s_barrier
	s_and_saveexec_b64 s[22:23], s[0:1]
	s_cbranch_execz .LBB16_21
; %bb.20:                               ;   in Loop: Header=BB16_3 Depth=1
	ds_read_u8 v19, v2 offset:255
	ds_read_u8 v20, v2 offset:511
	s_waitcnt lgkmcnt(0)
	v_add_u32_e32 v19, v20, v19
	ds_write_b8 v2, v19 offset:511
.LBB16_21:                              ;   in Loop: Header=BB16_3 Depth=1
	s_or_b64 exec, exec, s[22:23]
	s_and_saveexec_b64 s[22:23], s[0:1]
; %bb.22:                               ;   in Loop: Header=BB16_3 Depth=1
	ds_write_b8 v2, v2 offset:511
; %bb.23:                               ;   in Loop: Header=BB16_3 Depth=1
	s_or_b64 exec, exec, s[22:23]
	s_waitcnt lgkmcnt(0)
	s_barrier
	s_and_saveexec_b64 s[22:23], s[0:1]
	s_cbranch_execz .LBB16_25
; %bb.24:                               ;   in Loop: Header=BB16_3 Depth=1
	ds_read_u8 v19, v2 offset:511
	ds_read_u8 v20, v2 offset:255
	s_waitcnt lgkmcnt(1)
	ds_write_b8 v2, v19 offset:255
	s_waitcnt lgkmcnt(1)
	v_add_u32_e32 v19, v19, v20
	ds_write_b8 v2, v19 offset:511
.LBB16_25:                              ;   in Loop: Header=BB16_3 Depth=1
	s_or_b64 exec, exec, s[22:23]
	s_waitcnt lgkmcnt(0)
	s_barrier
	s_and_saveexec_b64 s[22:23], s[20:21]
	s_cbranch_execz .LBB16_27
; %bb.26:                               ;   in Loop: Header=BB16_3 Depth=1
	ds_read_u8 v19, v15
	ds_read_u8 v20, v0
	s_waitcnt lgkmcnt(1)
	ds_write_b8 v0, v19
	s_waitcnt lgkmcnt(1)
	v_add_u16_e32 v19, v19, v20
	ds_write_b8 v15, v19
.LBB16_27:                              ;   in Loop: Header=BB16_3 Depth=1
	s_or_b64 exec, exec, s[22:23]
	s_waitcnt lgkmcnt(0)
	s_barrier
	s_and_saveexec_b64 s[22:23], s[18:19]
	s_cbranch_execz .LBB16_29
; %bb.28:                               ;   in Loop: Header=BB16_3 Depth=1
	ds_read_u8 v19, v14
	ds_read_u8 v20, v13
	s_waitcnt lgkmcnt(1)
	ds_write_b8 v13, v19
	s_waitcnt lgkmcnt(1)
	v_add_u16_e32 v19, v19, v20
	ds_write_b8 v14, v19
.LBB16_29:                              ;   in Loop: Header=BB16_3 Depth=1
	;; [unrolled: 14-line block ×7, first 2 shown]
	s_or_b64 exec, exec, s[22:23]
	s_waitcnt lgkmcnt(0)
	s_barrier
                                        ; implicit-def: $vgpr19
                                        ; implicit-def: $vgpr20
	s_and_saveexec_b64 s[22:23], s[4:5]
	s_xor_b64 s[22:23], exec, s[22:23]
	s_cbranch_execz .LBB16_41
; %bb.40:                               ;   in Loop: Header=BB16_3 Depth=1
	ds_read_u16 v19, v1
	s_waitcnt lgkmcnt(0)
	v_lshrrev_b16_e32 v20, 8, v19
.LBB16_41:                              ;   in Loop: Header=BB16_3 Depth=1
	s_andn2_saveexec_b64 s[22:23], s[22:23]
	s_cbranch_execz .LBB16_2
; %bb.42:                               ;   in Loop: Header=BB16_3 Depth=1
	ds_read_u16 v20, v1
	s_waitcnt lgkmcnt(0)
	v_lshrrev_b16_e32 v19, 8, v20
	v_add_u16_e32 v20, v19, v20
	v_lshlrev_b16_e32 v21, 8, v20
	v_or_b32_e32 v21, v19, v21
	ds_write_b16 v1, v21
	s_branch .LBB16_2
.LBB16_43:
	s_endpgm
	.section	.rodata,"a",@progbits
	.p2align	6, 0x0
	.amdhsa_kernel _Z4scanIcLi512EEvlPT_PKS0_
		.amdhsa_group_segment_fixed_size 512
		.amdhsa_private_segment_fixed_size 0
		.amdhsa_kernarg_size 280
		.amdhsa_user_sgpr_count 6
		.amdhsa_user_sgpr_private_segment_buffer 1
		.amdhsa_user_sgpr_dispatch_ptr 0
		.amdhsa_user_sgpr_queue_ptr 0
		.amdhsa_user_sgpr_kernarg_segment_ptr 1
		.amdhsa_user_sgpr_dispatch_id 0
		.amdhsa_user_sgpr_flat_scratch_init 0
		.amdhsa_user_sgpr_private_segment_size 0
		.amdhsa_uses_dynamic_stack 0
		.amdhsa_system_sgpr_private_segment_wavefront_offset 0
		.amdhsa_system_sgpr_workgroup_id_x 1
		.amdhsa_system_sgpr_workgroup_id_y 0
		.amdhsa_system_sgpr_workgroup_id_z 0
		.amdhsa_system_sgpr_workgroup_info 0
		.amdhsa_system_vgpr_workitem_id 0
		.amdhsa_next_free_vgpr 23
		.amdhsa_next_free_sgpr 36
		.amdhsa_reserve_vcc 1
		.amdhsa_reserve_flat_scratch 0
		.amdhsa_float_round_mode_32 0
		.amdhsa_float_round_mode_16_64 0
		.amdhsa_float_denorm_mode_32 3
		.amdhsa_float_denorm_mode_16_64 3
		.amdhsa_dx10_clamp 1
		.amdhsa_ieee_mode 1
		.amdhsa_fp16_overflow 0
		.amdhsa_exception_fp_ieee_invalid_op 0
		.amdhsa_exception_fp_denorm_src 0
		.amdhsa_exception_fp_ieee_div_zero 0
		.amdhsa_exception_fp_ieee_overflow 0
		.amdhsa_exception_fp_ieee_underflow 0
		.amdhsa_exception_fp_ieee_inexact 0
		.amdhsa_exception_int_div_zero 0
	.end_amdhsa_kernel
	.section	.text._Z4scanIcLi512EEvlPT_PKS0_,"axG",@progbits,_Z4scanIcLi512EEvlPT_PKS0_,comdat
.Lfunc_end16:
	.size	_Z4scanIcLi512EEvlPT_PKS0_, .Lfunc_end16-_Z4scanIcLi512EEvlPT_PKS0_
                                        ; -- End function
	.set _Z4scanIcLi512EEvlPT_PKS0_.num_vgpr, 23
	.set _Z4scanIcLi512EEvlPT_PKS0_.num_agpr, 0
	.set _Z4scanIcLi512EEvlPT_PKS0_.numbered_sgpr, 36
	.set _Z4scanIcLi512EEvlPT_PKS0_.num_named_barrier, 0
	.set _Z4scanIcLi512EEvlPT_PKS0_.private_seg_size, 0
	.set _Z4scanIcLi512EEvlPT_PKS0_.uses_vcc, 1
	.set _Z4scanIcLi512EEvlPT_PKS0_.uses_flat_scratch, 0
	.set _Z4scanIcLi512EEvlPT_PKS0_.has_dyn_sized_stack, 0
	.set _Z4scanIcLi512EEvlPT_PKS0_.has_recursion, 0
	.set _Z4scanIcLi512EEvlPT_PKS0_.has_indirect_call, 0
	.section	.AMDGPU.csdata,"",@progbits
; Kernel info:
; codeLenInByte = 1492
; TotalNumSgprs: 40
; NumVgprs: 23
; ScratchSize: 0
; MemoryBound: 0
; FloatMode: 240
; IeeeMode: 1
; LDSByteSize: 512 bytes/workgroup (compile time only)
; SGPRBlocks: 4
; VGPRBlocks: 5
; NumSGPRsForWavesPerEU: 40
; NumVGPRsForWavesPerEU: 23
; Occupancy: 10
; WaveLimiterHint : 0
; COMPUTE_PGM_RSRC2:SCRATCH_EN: 0
; COMPUTE_PGM_RSRC2:USER_SGPR: 6
; COMPUTE_PGM_RSRC2:TRAP_HANDLER: 0
; COMPUTE_PGM_RSRC2:TGID_X_EN: 1
; COMPUTE_PGM_RSRC2:TGID_Y_EN: 0
; COMPUTE_PGM_RSRC2:TGID_Z_EN: 0
; COMPUTE_PGM_RSRC2:TIDIG_COMP_CNT: 0
	.section	.text._Z9scan_bcaoIcLi512EEvlPT_PKS0_,"axG",@progbits,_Z9scan_bcaoIcLi512EEvlPT_PKS0_,comdat
	.protected	_Z9scan_bcaoIcLi512EEvlPT_PKS0_ ; -- Begin function _Z9scan_bcaoIcLi512EEvlPT_PKS0_
	.globl	_Z9scan_bcaoIcLi512EEvlPT_PKS0_
	.p2align	8
	.type	_Z9scan_bcaoIcLi512EEvlPT_PKS0_,@function
_Z9scan_bcaoIcLi512EEvlPT_PKS0_:        ; @_Z9scan_bcaoIcLi512EEvlPT_PKS0_
; %bb.0:
	s_load_dwordx2 s[24:25], s[4:5], 0x0
	s_mov_b32 s7, 0
	v_mov_b32_e32 v1, s6
	v_mov_b32_e32 v2, s7
	s_waitcnt lgkmcnt(0)
	v_cmp_le_i64_e32 vcc, s[24:25], v[1:2]
	s_cbranch_vccnz .LBB17_41
; %bb.1:
	v_add_u32_e32 v1, 0x100, v0
	v_lshrrev_b32_e32 v18, 5, v1
	v_lshlrev_b32_e32 v1, 1, v0
	v_or_b32_e32 v13, 1, v1
	v_add_u32_e32 v14, 2, v1
	v_lshlrev_b32_e32 v3, 1, v13
	v_lshlrev_b32_e32 v5, 1, v14
	v_add_u32_e32 v4, -1, v3
	v_add_u32_e32 v6, -1, v5
	v_add_u32_e32 v9, v4, v3
	v_add_u32_e32 v10, v6, v5
	v_lshl_add_u32 v12, v13, 2, v9
	v_lshl_add_u32 v15, v14, 2, v10
	v_lshrrev_b32_e32 v7, 5, v4
	v_lshrrev_b32_e32 v8, 5, v6
	;; [unrolled: 1-line block ×4, first 2 shown]
	v_lshl_add_u32 v20, v13, 3, v12
	v_lshl_add_u32 v21, v14, 3, v15
	s_load_dwordx4 s[20:23], s[4:5], 0x8
	s_load_dword s26, s[4:5], 0x18
	v_lshrrev_b32_e32 v19, 5, v15
	v_add_u32_e32 v3, v4, v7
	v_add_u32_e32 v4, v6, v8
	;; [unrolled: 1-line block ×3, first 2 shown]
	v_lshl_add_u32 v11, v13, 4, v20
	v_add_u32_e32 v7, v12, v16
	v_lshl_add_u32 v12, v14, 4, v21
	v_add_u32_e32 v8, v15, v19
	v_lshrrev_b32_e32 v15, 5, v11
	v_lshrrev_b32_e32 v16, 5, v12
	v_lshl_add_u32 v19, v13, 5, v11
	v_lshrrev_b32_e32 v5, 5, v9
	v_lshrrev_b32_e32 v22, 5, v20
	v_add_u32_e32 v11, v11, v15
	v_lshl_add_u32 v15, v14, 5, v12
	v_add_u32_e32 v12, v12, v16
	v_lshrrev_b32_e32 v16, 5, v19
	v_add_u32_e32 v5, v9, v5
	v_add_u32_e32 v9, v20, v22
	v_lshl_add_u32 v20, v13, 6, v19
	v_add_u32_e32 v13, v19, v16
	v_lshrrev_b32_e32 v16, 5, v15
	v_lshl_add_u32 v19, v14, 6, v15
	s_movk_i32 s2, 0x100
	v_lshrrev_b32_e32 v17, 5, v0
	s_mov_b32 s27, s7
	v_add_u32_e32 v14, v15, v16
	v_lshrrev_b32_e32 v15, 5, v20
	v_lshrrev_b32_e32 v16, 5, v19
	s_movk_i32 s4, 0x80
	s_lshl_b64 s[28:29], s[6:7], 9
	v_cmp_eq_u32_e64 s[0:1], 0, v0
	v_cmp_gt_u32_e64 s[2:3], s2, v0
	v_lshrrev_b32_e32 v2, 4, v0
	v_add_u32_e32 v15, v20, v15
	v_add_u32_e32 v16, v19, v16
	;; [unrolled: 1-line block ×3, first 2 shown]
	v_cmp_gt_u32_e64 s[4:5], s4, v0
	v_cmp_gt_u32_e64 s[8:9], 64, v0
	;; [unrolled: 1-line block ×7, first 2 shown]
	v_add_u32_e32 v17, v0, v17
	v_add_u32_e32 v18, v0, v18
	v_mov_b32_e32 v19, s29
	v_add_co_u32_e32 v0, vcc, s28, v0
	s_waitcnt lgkmcnt(0)
	s_lshl_b64 s[28:29], s[26:27], 9
	v_lshrrev_b32_e32 v23, 5, v21
	s_add_u32 s27, s20, 0x100
	v_add_u32_e32 v10, v21, v23
	v_addc_co_u32_e32 v19, vcc, 0, v19, vcc
	s_addc_u32 s30, s21, 0
	v_add_u32_e32 v20, v20, v2
	v_mov_b32_e32 v21, 0
	s_branch .LBB17_3
.LBB17_2:                               ;   in Loop: Header=BB17_3 Depth=1
	s_or_b64 exec, exec, s[20:21]
	s_waitcnt lgkmcnt(0)
	s_barrier
	ds_read_u8 v24, v17
	ds_read_u8 v25, v18 offset:256
	v_mov_b32_e32 v23, s30
	v_add_co_u32_e32 v22, vcc, s27, v0
	v_addc_co_u32_e32 v23, vcc, v23, v19, vcc
	s_waitcnt lgkmcnt(1)
	global_store_byte v[22:23], v24, off offset:-256
	s_waitcnt lgkmcnt(0)
	global_store_byte v[22:23], v25, off
	s_add_u32 s6, s6, s26
	v_mov_b32_e32 v22, s24
	s_addc_u32 s7, s7, 0
	v_mov_b32_e32 v23, s25
	v_cmp_ge_i64_e32 vcc, s[6:7], v[22:23]
	v_mov_b32_e32 v24, s29
	v_add_co_u32_e64 v0, s[20:21], s28, v0
	v_addc_co_u32_e64 v19, s[20:21], v19, v24, s[20:21]
	s_cbranch_vccnz .LBB17_41
.LBB17_3:                               ; =>This Inner Loop Header: Depth=1
	v_mov_b32_e32 v23, s23
	v_add_co_u32_e32 v22, vcc, s22, v0
	v_addc_co_u32_e32 v23, vcc, v23, v19, vcc
	global_load_ubyte v24, v[22:23], off
	global_load_ubyte v25, v[22:23], off offset:256
	s_waitcnt vmcnt(1)
	ds_write_b8 v17, v24
	s_waitcnt vmcnt(0)
	ds_write_b8 v18, v25 offset:256
	s_waitcnt lgkmcnt(0)
	s_barrier
	s_and_saveexec_b64 s[20:21], s[2:3]
	s_cbranch_execz .LBB17_5
; %bb.4:                                ;   in Loop: Header=BB17_3 Depth=1
	ds_read_u8 v22, v20
	ds_read_u8 v23, v20 offset:1
	s_waitcnt lgkmcnt(0)
	v_add_u16_e32 v22, v23, v22
	ds_write_b8 v20, v22 offset:1
.LBB17_5:                               ;   in Loop: Header=BB17_3 Depth=1
	s_or_b64 exec, exec, s[20:21]
	s_waitcnt lgkmcnt(0)
	s_barrier
	s_and_saveexec_b64 s[20:21], s[4:5]
	s_cbranch_execz .LBB17_7
; %bb.6:                                ;   in Loop: Header=BB17_3 Depth=1
	ds_read_u8 v22, v3
	ds_read_u8 v23, v4
	s_waitcnt lgkmcnt(0)
	v_add_u16_e32 v22, v23, v22
	ds_write_b8 v4, v22
.LBB17_7:                               ;   in Loop: Header=BB17_3 Depth=1
	s_or_b64 exec, exec, s[20:21]
	s_waitcnt lgkmcnt(0)
	s_barrier
	s_and_saveexec_b64 s[20:21], s[8:9]
	s_cbranch_execz .LBB17_9
; %bb.8:                                ;   in Loop: Header=BB17_3 Depth=1
	ds_read_u8 v22, v5
	ds_read_u8 v23, v6
	s_waitcnt lgkmcnt(0)
	v_add_u16_e32 v22, v23, v22
	ds_write_b8 v6, v22
.LBB17_9:                               ;   in Loop: Header=BB17_3 Depth=1
	s_or_b64 exec, exec, s[20:21]
	s_waitcnt lgkmcnt(0)
	s_barrier
	s_and_saveexec_b64 s[20:21], s[10:11]
	s_cbranch_execz .LBB17_11
; %bb.10:                               ;   in Loop: Header=BB17_3 Depth=1
	ds_read_u8 v22, v7
	ds_read_u8 v23, v8
	s_waitcnt lgkmcnt(0)
	v_add_u16_e32 v22, v23, v22
	ds_write_b8 v8, v22
.LBB17_11:                              ;   in Loop: Header=BB17_3 Depth=1
	s_or_b64 exec, exec, s[20:21]
	s_waitcnt lgkmcnt(0)
	s_barrier
	s_and_saveexec_b64 s[20:21], s[12:13]
	s_cbranch_execz .LBB17_13
; %bb.12:                               ;   in Loop: Header=BB17_3 Depth=1
	ds_read_u8 v22, v9
	ds_read_u8 v23, v10
	s_waitcnt lgkmcnt(0)
	v_add_u16_e32 v22, v23, v22
	ds_write_b8 v10, v22
.LBB17_13:                              ;   in Loop: Header=BB17_3 Depth=1
	;; [unrolled: 12-line block ×5, first 2 shown]
	s_or_b64 exec, exec, s[20:21]
	s_waitcnt lgkmcnt(0)
	s_barrier
	s_and_saveexec_b64 s[20:21], s[0:1]
	s_cbranch_execz .LBB17_21
; %bb.20:                               ;   in Loop: Header=BB17_3 Depth=1
	ds_read_u8 v22, v21 offset:262
	ds_read_u8 v23, v21 offset:526
	s_waitcnt lgkmcnt(0)
	v_add_u32_e32 v22, v23, v22
	ds_write_b8 v21, v22 offset:526
.LBB17_21:                              ;   in Loop: Header=BB17_3 Depth=1
	s_or_b64 exec, exec, s[20:21]
	s_and_saveexec_b64 s[20:21], s[0:1]
; %bb.22:                               ;   in Loop: Header=BB17_3 Depth=1
	ds_write_b8 v21, v21 offset:526
; %bb.23:                               ;   in Loop: Header=BB17_3 Depth=1
	s_or_b64 exec, exec, s[20:21]
	s_waitcnt lgkmcnt(0)
	s_barrier
	s_and_saveexec_b64 s[20:21], s[0:1]
	s_cbranch_execz .LBB17_25
; %bb.24:                               ;   in Loop: Header=BB17_3 Depth=1
	ds_read_u8 v22, v21 offset:526
	ds_read_u8 v23, v21 offset:262
	s_waitcnt lgkmcnt(1)
	ds_write_b8 v21, v22 offset:262
	s_waitcnt lgkmcnt(1)
	v_add_u32_e32 v22, v22, v23
	ds_write_b8 v21, v22 offset:526
.LBB17_25:                              ;   in Loop: Header=BB17_3 Depth=1
	s_or_b64 exec, exec, s[20:21]
	s_waitcnt lgkmcnt(0)
	s_barrier
	s_and_saveexec_b64 s[20:21], s[18:19]
	s_cbranch_execz .LBB17_27
; %bb.26:                               ;   in Loop: Header=BB17_3 Depth=1
	ds_read_u8 v22, v16
	ds_read_u8 v23, v15
	s_waitcnt lgkmcnt(1)
	ds_write_b8 v15, v22
	s_waitcnt lgkmcnt(1)
	v_add_u16_e32 v22, v22, v23
	ds_write_b8 v16, v22
.LBB17_27:                              ;   in Loop: Header=BB17_3 Depth=1
	s_or_b64 exec, exec, s[20:21]
	s_waitcnt lgkmcnt(0)
	s_barrier
	s_and_saveexec_b64 s[20:21], s[16:17]
	s_cbranch_execz .LBB17_29
; %bb.28:                               ;   in Loop: Header=BB17_3 Depth=1
	ds_read_u8 v22, v14
	ds_read_u8 v23, v13
	s_waitcnt lgkmcnt(1)
	ds_write_b8 v13, v22
	s_waitcnt lgkmcnt(1)
	v_add_u16_e32 v22, v22, v23
	ds_write_b8 v14, v22
.LBB17_29:                              ;   in Loop: Header=BB17_3 Depth=1
	;; [unrolled: 14-line block ×7, first 2 shown]
	s_or_b64 exec, exec, s[20:21]
	s_waitcnt lgkmcnt(0)
	s_barrier
	s_and_saveexec_b64 s[20:21], s[2:3]
	s_cbranch_execz .LBB17_2
; %bb.40:                               ;   in Loop: Header=BB17_3 Depth=1
	v_add_u32_e32 v22, v1, v2
	ds_read_u8 v23, v22 offset:1
	ds_read_u8 v24, v22
	s_waitcnt lgkmcnt(1)
	ds_write_b8 v22, v23
	s_waitcnt lgkmcnt(1)
	v_add_u16_e32 v23, v23, v24
	ds_write_b8 v22, v23 offset:1
	s_branch .LBB17_2
.LBB17_41:
	s_endpgm
	.section	.rodata,"a",@progbits
	.p2align	6, 0x0
	.amdhsa_kernel _Z9scan_bcaoIcLi512EEvlPT_PKS0_
		.amdhsa_group_segment_fixed_size 1024
		.amdhsa_private_segment_fixed_size 0
		.amdhsa_kernarg_size 280
		.amdhsa_user_sgpr_count 6
		.amdhsa_user_sgpr_private_segment_buffer 1
		.amdhsa_user_sgpr_dispatch_ptr 0
		.amdhsa_user_sgpr_queue_ptr 0
		.amdhsa_user_sgpr_kernarg_segment_ptr 1
		.amdhsa_user_sgpr_dispatch_id 0
		.amdhsa_user_sgpr_flat_scratch_init 0
		.amdhsa_user_sgpr_private_segment_size 0
		.amdhsa_uses_dynamic_stack 0
		.amdhsa_system_sgpr_private_segment_wavefront_offset 0
		.amdhsa_system_sgpr_workgroup_id_x 1
		.amdhsa_system_sgpr_workgroup_id_y 0
		.amdhsa_system_sgpr_workgroup_id_z 0
		.amdhsa_system_sgpr_workgroup_info 0
		.amdhsa_system_vgpr_workitem_id 0
		.amdhsa_next_free_vgpr 26
		.amdhsa_next_free_sgpr 31
		.amdhsa_reserve_vcc 1
		.amdhsa_reserve_flat_scratch 0
		.amdhsa_float_round_mode_32 0
		.amdhsa_float_round_mode_16_64 0
		.amdhsa_float_denorm_mode_32 3
		.amdhsa_float_denorm_mode_16_64 3
		.amdhsa_dx10_clamp 1
		.amdhsa_ieee_mode 1
		.amdhsa_fp16_overflow 0
		.amdhsa_exception_fp_ieee_invalid_op 0
		.amdhsa_exception_fp_denorm_src 0
		.amdhsa_exception_fp_ieee_div_zero 0
		.amdhsa_exception_fp_ieee_overflow 0
		.amdhsa_exception_fp_ieee_underflow 0
		.amdhsa_exception_fp_ieee_inexact 0
		.amdhsa_exception_int_div_zero 0
	.end_amdhsa_kernel
	.section	.text._Z9scan_bcaoIcLi512EEvlPT_PKS0_,"axG",@progbits,_Z9scan_bcaoIcLi512EEvlPT_PKS0_,comdat
.Lfunc_end17:
	.size	_Z9scan_bcaoIcLi512EEvlPT_PKS0_, .Lfunc_end17-_Z9scan_bcaoIcLi512EEvlPT_PKS0_
                                        ; -- End function
	.set _Z9scan_bcaoIcLi512EEvlPT_PKS0_.num_vgpr, 26
	.set _Z9scan_bcaoIcLi512EEvlPT_PKS0_.num_agpr, 0
	.set _Z9scan_bcaoIcLi512EEvlPT_PKS0_.numbered_sgpr, 31
	.set _Z9scan_bcaoIcLi512EEvlPT_PKS0_.num_named_barrier, 0
	.set _Z9scan_bcaoIcLi512EEvlPT_PKS0_.private_seg_size, 0
	.set _Z9scan_bcaoIcLi512EEvlPT_PKS0_.uses_vcc, 1
	.set _Z9scan_bcaoIcLi512EEvlPT_PKS0_.uses_flat_scratch, 0
	.set _Z9scan_bcaoIcLi512EEvlPT_PKS0_.has_dyn_sized_stack, 0
	.set _Z9scan_bcaoIcLi512EEvlPT_PKS0_.has_recursion, 0
	.set _Z9scan_bcaoIcLi512EEvlPT_PKS0_.has_indirect_call, 0
	.section	.AMDGPU.csdata,"",@progbits
; Kernel info:
; codeLenInByte = 1668
; TotalNumSgprs: 35
; NumVgprs: 26
; ScratchSize: 0
; MemoryBound: 0
; FloatMode: 240
; IeeeMode: 1
; LDSByteSize: 1024 bytes/workgroup (compile time only)
; SGPRBlocks: 4
; VGPRBlocks: 6
; NumSGPRsForWavesPerEU: 35
; NumVGPRsForWavesPerEU: 26
; Occupancy: 9
; WaveLimiterHint : 1
; COMPUTE_PGM_RSRC2:SCRATCH_EN: 0
; COMPUTE_PGM_RSRC2:USER_SGPR: 6
; COMPUTE_PGM_RSRC2:TRAP_HANDLER: 0
; COMPUTE_PGM_RSRC2:TGID_X_EN: 1
; COMPUTE_PGM_RSRC2:TGID_Y_EN: 0
; COMPUTE_PGM_RSRC2:TGID_Z_EN: 0
; COMPUTE_PGM_RSRC2:TIDIG_COMP_CNT: 0
	.section	.text._Z4scanIsLi512EEvlPT_PKS0_,"axG",@progbits,_Z4scanIsLi512EEvlPT_PKS0_,comdat
	.protected	_Z4scanIsLi512EEvlPT_PKS0_ ; -- Begin function _Z4scanIsLi512EEvlPT_PKS0_
	.globl	_Z4scanIsLi512EEvlPT_PKS0_
	.p2align	8
	.type	_Z4scanIsLi512EEvlPT_PKS0_,@function
_Z4scanIsLi512EEvlPT_PKS0_:             ; @_Z4scanIsLi512EEvlPT_PKS0_
; %bb.0:
	s_load_dwordx2 s[28:29], s[4:5], 0x0
	s_mov_b32 s7, 0
	v_mov_b32_e32 v1, s6
	v_mov_b32_e32 v2, s7
	s_waitcnt lgkmcnt(0)
	v_cmp_le_i64_e32 vcc, s[28:29], v[1:2]
	s_cbranch_vccnz .LBB18_43
; %bb.1:
	v_lshlrev_b32_e32 v2, 1, v0
	v_or_b32_e32 v14, 1, v2
	v_add_u32_e32 v15, 2, v2
	v_lshlrev_b32_e32 v4, 2, v14
	v_lshlrev_b32_e32 v5, 2, v15
	v_add_u32_e32 v2, -2, v4
	v_add_u32_e32 v3, -2, v5
	s_load_dwordx4 s[24:27], s[4:5], 0x8
	s_load_dword s30, s[4:5], 0x18
	v_add_u32_e32 v4, v2, v4
	v_add_u32_e32 v5, v3, v5
	v_lshl_add_u32 v6, v14, 3, v4
	v_lshl_add_u32 v7, v15, 3, v5
	;; [unrolled: 1-line block ×4, first 2 shown]
	v_lshlrev_b32_e32 v1, 2, v0
	v_lshl_add_u32 v10, v14, 5, v8
	v_lshl_add_u32 v11, v15, 5, v9
	s_lshl_b64 s[22:23], s[6:7], 10
	s_mov_b32 s31, s7
	s_movk_i32 s2, 0x100
	s_movk_i32 s4, 0xff
	;; [unrolled: 1-line block ×3, first 2 shown]
	v_lshl_add_u32 v12, v14, 6, v10
	v_lshl_add_u32 v13, v15, 6, v11
	v_mov_b32_e32 v17, s23
	v_add_co_u32_e32 v16, vcc, s22, v1
	v_cmp_eq_u32_e64 s[0:1], 0, v0
	v_cmp_gt_u32_e64 s[2:3], s2, v0
	v_cmp_lt_u32_e64 s[4:5], s4, v0
	v_cmp_gt_u32_e64 s[8:9], s8, v0
	v_cmp_gt_u32_e64 s[10:11], 64, v0
	;; [unrolled: 1-line block ×7, first 2 shown]
	v_lshl_add_u32 v0, v14, 7, v12
	v_lshl_add_u32 v14, v15, 7, v13
	v_mov_b32_e32 v15, 0
	v_addc_co_u32_e32 v17, vcc, 0, v17, vcc
	s_waitcnt lgkmcnt(0)
	s_lshl_b64 s[34:35], s[30:31], 10
	v_mov_b32_e32 v18, s27
	s_branch .LBB18_3
.LBB18_2:                               ;   in Loop: Header=BB18_3 Depth=1
	s_or_b64 exec, exec, s[22:23]
	v_mov_b32_e32 v21, s25
	v_add_co_u32_e32 v20, vcc, s24, v16
	v_addc_co_u32_e32 v21, vcc, v21, v17, vcc
	s_waitcnt lgkmcnt(0)
	global_store_dword v[20:21], v19, off
	s_add_u32 s6, s6, s30
	v_mov_b32_e32 v19, s28
	s_addc_u32 s7, s7, 0
	v_mov_b32_e32 v20, s29
	v_cmp_ge_i64_e32 vcc, s[6:7], v[19:20]
	v_mov_b32_e32 v21, s35
	v_add_co_u32_e64 v16, s[22:23], s34, v16
	v_addc_co_u32_e64 v17, s[22:23], v17, v21, s[22:23]
	s_cbranch_vccnz .LBB18_43
.LBB18_3:                               ; =>This Inner Loop Header: Depth=1
	v_add_co_u32_e32 v19, vcc, s26, v16
	v_addc_co_u32_e32 v20, vcc, v18, v17, vcc
	global_load_dword v19, v[19:20], off
	s_waitcnt vmcnt(0)
	ds_write_b32 v1, v19
	s_waitcnt lgkmcnt(0)
	s_barrier
	s_and_saveexec_b64 s[22:23], s[2:3]
	s_cbranch_execz .LBB18_5
; %bb.4:                                ;   in Loop: Header=BB18_3 Depth=1
	ds_read_b32 v19, v1
	s_waitcnt lgkmcnt(0)
	v_add_u16_sdwa v19, v19, v19 dst_sel:DWORD dst_unused:UNUSED_PAD src0_sel:WORD_1 src1_sel:DWORD
	ds_write_b16 v1, v19 offset:2
.LBB18_5:                               ;   in Loop: Header=BB18_3 Depth=1
	s_or_b64 exec, exec, s[22:23]
	s_waitcnt lgkmcnt(0)
	s_barrier
	s_and_saveexec_b64 s[22:23], s[8:9]
	s_cbranch_execz .LBB18_7
; %bb.6:                                ;   in Loop: Header=BB18_3 Depth=1
	ds_read_u16 v19, v2
	ds_read_u16 v20, v3
	s_waitcnt lgkmcnt(0)
	v_add_u16_e32 v19, v20, v19
	ds_write_b16 v3, v19
.LBB18_7:                               ;   in Loop: Header=BB18_3 Depth=1
	s_or_b64 exec, exec, s[22:23]
	s_waitcnt lgkmcnt(0)
	s_barrier
	s_and_saveexec_b64 s[22:23], s[10:11]
	s_cbranch_execz .LBB18_9
; %bb.8:                                ;   in Loop: Header=BB18_3 Depth=1
	ds_read_u16 v19, v4
	ds_read_u16 v20, v5
	s_waitcnt lgkmcnt(0)
	v_add_u16_e32 v19, v20, v19
	ds_write_b16 v5, v19
.LBB18_9:                               ;   in Loop: Header=BB18_3 Depth=1
	s_or_b64 exec, exec, s[22:23]
	s_waitcnt lgkmcnt(0)
	s_barrier
	s_and_saveexec_b64 s[22:23], s[12:13]
	s_cbranch_execz .LBB18_11
; %bb.10:                               ;   in Loop: Header=BB18_3 Depth=1
	ds_read_u16 v19, v6
	ds_read_u16 v20, v7
	s_waitcnt lgkmcnt(0)
	v_add_u16_e32 v19, v20, v19
	ds_write_b16 v7, v19
.LBB18_11:                              ;   in Loop: Header=BB18_3 Depth=1
	s_or_b64 exec, exec, s[22:23]
	s_waitcnt lgkmcnt(0)
	s_barrier
	s_and_saveexec_b64 s[22:23], s[14:15]
	s_cbranch_execz .LBB18_13
; %bb.12:                               ;   in Loop: Header=BB18_3 Depth=1
	ds_read_u16 v19, v8
	ds_read_u16 v20, v9
	s_waitcnt lgkmcnt(0)
	v_add_u16_e32 v19, v20, v19
	ds_write_b16 v9, v19
.LBB18_13:                              ;   in Loop: Header=BB18_3 Depth=1
	;; [unrolled: 12-line block ×5, first 2 shown]
	s_or_b64 exec, exec, s[22:23]
	s_waitcnt lgkmcnt(0)
	s_barrier
	s_and_saveexec_b64 s[22:23], s[0:1]
	s_cbranch_execz .LBB18_21
; %bb.20:                               ;   in Loop: Header=BB18_3 Depth=1
	ds_read_u16 v19, v15 offset:510
	ds_read_u16 v20, v15 offset:1022
	s_waitcnt lgkmcnt(0)
	v_add_u32_e32 v19, v20, v19
	ds_write_b16 v15, v19 offset:1022
.LBB18_21:                              ;   in Loop: Header=BB18_3 Depth=1
	s_or_b64 exec, exec, s[22:23]
	s_and_saveexec_b64 s[22:23], s[0:1]
; %bb.22:                               ;   in Loop: Header=BB18_3 Depth=1
	ds_write_b16 v15, v15 offset:1022
; %bb.23:                               ;   in Loop: Header=BB18_3 Depth=1
	s_or_b64 exec, exec, s[22:23]
	s_waitcnt lgkmcnt(0)
	s_barrier
	s_and_saveexec_b64 s[22:23], s[0:1]
	s_cbranch_execz .LBB18_25
; %bb.24:                               ;   in Loop: Header=BB18_3 Depth=1
	ds_read_u16 v19, v15 offset:1022
	ds_read_u16 v20, v15 offset:510
	s_waitcnt lgkmcnt(1)
	ds_write_b16 v15, v19 offset:510
	s_waitcnt lgkmcnt(1)
	v_add_u32_e32 v19, v19, v20
	ds_write_b16 v15, v19 offset:1022
.LBB18_25:                              ;   in Loop: Header=BB18_3 Depth=1
	s_or_b64 exec, exec, s[22:23]
	s_waitcnt lgkmcnt(0)
	s_barrier
	s_and_saveexec_b64 s[22:23], s[20:21]
	s_cbranch_execz .LBB18_27
; %bb.26:                               ;   in Loop: Header=BB18_3 Depth=1
	ds_read_u16 v19, v14
	ds_read_u16 v20, v0
	s_waitcnt lgkmcnt(1)
	ds_write_b16 v0, v19
	s_waitcnt lgkmcnt(1)
	v_add_u16_e32 v19, v19, v20
	ds_write_b16 v14, v19
.LBB18_27:                              ;   in Loop: Header=BB18_3 Depth=1
	s_or_b64 exec, exec, s[22:23]
	s_waitcnt lgkmcnt(0)
	s_barrier
	s_and_saveexec_b64 s[22:23], s[18:19]
	s_cbranch_execz .LBB18_29
; %bb.28:                               ;   in Loop: Header=BB18_3 Depth=1
	ds_read_u16 v19, v13
	ds_read_u16 v20, v12
	s_waitcnt lgkmcnt(1)
	ds_write_b16 v12, v19
	s_waitcnt lgkmcnt(1)
	v_add_u16_e32 v19, v19, v20
	ds_write_b16 v13, v19
.LBB18_29:                              ;   in Loop: Header=BB18_3 Depth=1
	;; [unrolled: 14-line block ×7, first 2 shown]
	s_or_b64 exec, exec, s[22:23]
	s_waitcnt lgkmcnt(0)
	s_barrier
                                        ; implicit-def: $vgpr19
	s_and_saveexec_b64 s[22:23], s[4:5]
	s_xor_b64 s[22:23], exec, s[22:23]
; %bb.40:                               ;   in Loop: Header=BB18_3 Depth=1
	ds_read_b32 v19, v1
; %bb.41:                               ;   in Loop: Header=BB18_3 Depth=1
	s_andn2_saveexec_b64 s[22:23], s[22:23]
	s_cbranch_execz .LBB18_2
; %bb.42:                               ;   in Loop: Header=BB18_3 Depth=1
	s_waitcnt lgkmcnt(0)
	ds_read_b32 v19, v1
	s_waitcnt lgkmcnt(0)
	v_add_u16_sdwa v20, v19, v19 dst_sel:DWORD dst_unused:UNUSED_PAD src0_sel:WORD_1 src1_sel:DWORD
	v_alignbit_b32 v19, v20, v19, 16
	ds_write_b32 v1, v19
	s_branch .LBB18_2
.LBB18_43:
	s_endpgm
	.section	.rodata,"a",@progbits
	.p2align	6, 0x0
	.amdhsa_kernel _Z4scanIsLi512EEvlPT_PKS0_
		.amdhsa_group_segment_fixed_size 1024
		.amdhsa_private_segment_fixed_size 0
		.amdhsa_kernarg_size 280
		.amdhsa_user_sgpr_count 6
		.amdhsa_user_sgpr_private_segment_buffer 1
		.amdhsa_user_sgpr_dispatch_ptr 0
		.amdhsa_user_sgpr_queue_ptr 0
		.amdhsa_user_sgpr_kernarg_segment_ptr 1
		.amdhsa_user_sgpr_dispatch_id 0
		.amdhsa_user_sgpr_flat_scratch_init 0
		.amdhsa_user_sgpr_private_segment_size 0
		.amdhsa_uses_dynamic_stack 0
		.amdhsa_system_sgpr_private_segment_wavefront_offset 0
		.amdhsa_system_sgpr_workgroup_id_x 1
		.amdhsa_system_sgpr_workgroup_id_y 0
		.amdhsa_system_sgpr_workgroup_id_z 0
		.amdhsa_system_sgpr_workgroup_info 0
		.amdhsa_system_vgpr_workitem_id 0
		.amdhsa_next_free_vgpr 22
		.amdhsa_next_free_sgpr 36
		.amdhsa_reserve_vcc 1
		.amdhsa_reserve_flat_scratch 0
		.amdhsa_float_round_mode_32 0
		.amdhsa_float_round_mode_16_64 0
		.amdhsa_float_denorm_mode_32 3
		.amdhsa_float_denorm_mode_16_64 3
		.amdhsa_dx10_clamp 1
		.amdhsa_ieee_mode 1
		.amdhsa_fp16_overflow 0
		.amdhsa_exception_fp_ieee_invalid_op 0
		.amdhsa_exception_fp_denorm_src 0
		.amdhsa_exception_fp_ieee_div_zero 0
		.amdhsa_exception_fp_ieee_overflow 0
		.amdhsa_exception_fp_ieee_underflow 0
		.amdhsa_exception_fp_ieee_inexact 0
		.amdhsa_exception_int_div_zero 0
	.end_amdhsa_kernel
	.section	.text._Z4scanIsLi512EEvlPT_PKS0_,"axG",@progbits,_Z4scanIsLi512EEvlPT_PKS0_,comdat
.Lfunc_end18:
	.size	_Z4scanIsLi512EEvlPT_PKS0_, .Lfunc_end18-_Z4scanIsLi512EEvlPT_PKS0_
                                        ; -- End function
	.set _Z4scanIsLi512EEvlPT_PKS0_.num_vgpr, 22
	.set _Z4scanIsLi512EEvlPT_PKS0_.num_agpr, 0
	.set _Z4scanIsLi512EEvlPT_PKS0_.numbered_sgpr, 36
	.set _Z4scanIsLi512EEvlPT_PKS0_.num_named_barrier, 0
	.set _Z4scanIsLi512EEvlPT_PKS0_.private_seg_size, 0
	.set _Z4scanIsLi512EEvlPT_PKS0_.uses_vcc, 1
	.set _Z4scanIsLi512EEvlPT_PKS0_.uses_flat_scratch, 0
	.set _Z4scanIsLi512EEvlPT_PKS0_.has_dyn_sized_stack, 0
	.set _Z4scanIsLi512EEvlPT_PKS0_.has_recursion, 0
	.set _Z4scanIsLi512EEvlPT_PKS0_.has_indirect_call, 0
	.section	.AMDGPU.csdata,"",@progbits
; Kernel info:
; codeLenInByte = 1472
; TotalNumSgprs: 40
; NumVgprs: 22
; ScratchSize: 0
; MemoryBound: 0
; FloatMode: 240
; IeeeMode: 1
; LDSByteSize: 1024 bytes/workgroup (compile time only)
; SGPRBlocks: 4
; VGPRBlocks: 5
; NumSGPRsForWavesPerEU: 40
; NumVGPRsForWavesPerEU: 22
; Occupancy: 10
; WaveLimiterHint : 0
; COMPUTE_PGM_RSRC2:SCRATCH_EN: 0
; COMPUTE_PGM_RSRC2:USER_SGPR: 6
; COMPUTE_PGM_RSRC2:TRAP_HANDLER: 0
; COMPUTE_PGM_RSRC2:TGID_X_EN: 1
; COMPUTE_PGM_RSRC2:TGID_Y_EN: 0
; COMPUTE_PGM_RSRC2:TGID_Z_EN: 0
; COMPUTE_PGM_RSRC2:TIDIG_COMP_CNT: 0
	.section	.text._Z9scan_bcaoIsLi512EEvlPT_PKS0_,"axG",@progbits,_Z9scan_bcaoIsLi512EEvlPT_PKS0_,comdat
	.protected	_Z9scan_bcaoIsLi512EEvlPT_PKS0_ ; -- Begin function _Z9scan_bcaoIsLi512EEvlPT_PKS0_
	.globl	_Z9scan_bcaoIsLi512EEvlPT_PKS0_
	.p2align	8
	.type	_Z9scan_bcaoIsLi512EEvlPT_PKS0_,@function
_Z9scan_bcaoIsLi512EEvlPT_PKS0_:        ; @_Z9scan_bcaoIsLi512EEvlPT_PKS0_
; %bb.0:
	s_load_dwordx2 s[24:25], s[4:5], 0x0
	s_mov_b32 s7, 0
	v_mov_b32_e32 v1, s6
	v_mov_b32_e32 v2, s7
	s_waitcnt lgkmcnt(0)
	v_cmp_le_i64_e32 vcc, s[24:25], v[1:2]
	s_cbranch_vccnz .LBB19_41
; %bb.1:
	v_lshlrev_b32_e32 v19, 1, v0
	v_or_b32_e32 v16, 1, v19
	v_lshlrev_b32_e32 v6, 1, v16
	v_add_u32_e32 v17, 2, v19
	v_add_u32_e32 v7, -1, v6
	v_lshlrev_b32_e32 v8, 1, v17
	v_add_u32_e32 v11, v7, v6
	v_add_u32_e32 v9, -1, v8
	v_lshrrev_b32_e32 v4, 4, v7
	v_lshrrev_b32_e32 v6, 4, v11
	v_and_b32_e32 v4, 0xfe, v4
	v_lshrrev_b32_e32 v5, 4, v9
	v_add_u32_e32 v8, v9, v8
	v_and_b32_e32 v6, 0xffffffe, v6
	v_lshl_add_u32 v4, v7, 1, v4
	v_lshlrev_b32_e32 v10, 1, v9
	v_and_b32_e32 v5, 0xffffffe, v5
	v_lshl_add_u32 v6, v11, 1, v6
	v_lshlrev_b32_e32 v9, 2, v17
	v_lshrrev_b32_e32 v7, 4, v8
	v_lshl_add_u32 v11, v16, 2, v11
	v_add_u32_e32 v5, v10, v5
	v_add_u32_e32 v10, v10, v9
	v_and_b32_e32 v7, 0xffffffe, v7
	v_lshlrev_b32_e32 v13, 3, v17
	v_lshl_add_u32 v15, v16, 3, v11
	v_add_u32_e32 v7, v10, v7
	v_add_u32_e32 v12, v8, v9
	;; [unrolled: 1-line block ×3, first 2 shown]
	v_lshrrev_b32_e32 v10, 4, v15
	v_lshrrev_b32_e32 v8, 4, v11
	v_lshrrev_b32_e32 v9, 4, v12
	v_and_b32_e32 v10, 0xffffffe, v10
	v_and_b32_e32 v8, 0xffffffe, v8
	;; [unrolled: 1-line block ×3, first 2 shown]
	v_add_u32_e32 v12, v12, v13
	v_lshl_add_u32 v10, v15, 1, v10
	v_lshlrev_b32_e32 v13, 4, v17
	v_lshl_add_u32 v15, v16, 4, v15
	s_load_dwordx4 s[20:23], s[4:5], 0x8
	s_load_dword s26, s[4:5], 0x18
	v_lshl_add_u32 v8, v11, 1, v8
	v_add_u32_e32 v9, v14, v9
	v_add_u32_e32 v14, v14, v13
	v_lshrrev_b32_e32 v11, 4, v12
	v_add_u32_e32 v20, v12, v13
	v_lshrrev_b32_e32 v12, 4, v15
	v_lshlrev_b32_e32 v21, 5, v17
	v_and_b32_e32 v12, 0xffffffe, v12
	v_add_u32_e32 v22, v14, v21
	v_lshrrev_b32_e32 v13, 4, v20
	v_add_u32_e32 v20, v20, v21
	v_lshlrev_b32_e32 v21, 6, v17
	v_add_u32_e32 v2, 0x100, v0
	v_lshl_add_u32 v12, v15, 1, v12
	v_lshl_add_u32 v23, v16, 5, v15
	v_lshrrev_b32_e32 v15, 4, v20
	v_add_u32_e32 v20, v20, v21
	v_lshrrev_b32_e32 v1, 4, v0
	v_lshrrev_b32_e32 v2, 4, v2
	;; [unrolled: 1-line block ×3, first 2 shown]
	v_and_b32_e32 v13, 0xffffffe, v13
	v_lshrrev_b32_e32 v20, 4, v20
	v_and_b32_e32 v1, 62, v1
	v_and_b32_e32 v2, 0x7e, v2
	s_mov_b32 s27, s7
	v_and_b32_e32 v18, 0x7e, v3
	v_and_b32_e32 v11, 0xffffffe, v11
	v_add_u32_e32 v13, v22, v13
	v_add_u32_e32 v22, v22, v21
	v_lshl_add_u32 v16, v16, 6, v23
	v_lshlrev_b32_e32 v17, 7, v17
	v_and_b32_e32 v20, 0xffffffe, v20
	s_lshl_b64 s[28:29], s[6:7], 10
	v_add_u32_e32 v1, v19, v1
	v_add_u32_e32 v2, v19, v2
	v_add3_u32 v3, v19, v19, v18
	v_add_u32_e32 v11, v14, v11
	v_lshrrev_b32_e32 v14, 4, v23
	v_lshrrev_b32_e32 v21, 4, v16
	v_add3_u32 v17, v22, v17, v20
	v_mov_b32_e32 v20, s29
	v_add_co_u32_e32 v19, vcc, s28, v19
	s_waitcnt lgkmcnt(0)
	s_lshl_b64 s[28:29], s[26:27], 10
	s_movk_i32 s2, 0x100
	s_movk_i32 s4, 0x80
	v_and_b32_e32 v14, 0xffffffe, v14
	v_and_b32_e32 v15, 0xffffffe, v15
	;; [unrolled: 1-line block ×3, first 2 shown]
	s_add_u32 s27, s20, 0x200
	v_cmp_eq_u32_e64 s[0:1], 0, v0
	v_cmp_gt_u32_e64 s[2:3], s2, v0
	v_cmp_gt_u32_e64 s[4:5], s4, v0
	;; [unrolled: 1-line block ×7, first 2 shown]
	v_lshl_add_u32 v14, v23, 1, v14
	v_add_u32_e32 v15, v22, v15
	v_cmp_gt_u32_e64 s[18:19], 2, v0
	v_lshl_add_u32 v16, v16, 1, v21
	v_lshl_add_u32 v0, v0, 2, v18
	v_mov_b32_e32 v18, 0
	v_addc_co_u32_e32 v20, vcc, 0, v20, vcc
	s_addc_u32 s30, s21, 0
	s_branch .LBB19_3
.LBB19_2:                               ;   in Loop: Header=BB19_3 Depth=1
	s_or_b64 exec, exec, s[20:21]
	s_waitcnt lgkmcnt(0)
	s_barrier
	ds_read_u16 v23, v1
	ds_read_u16 v24, v2 offset:512
	v_mov_b32_e32 v22, s30
	v_add_co_u32_e32 v21, vcc, s27, v19
	v_addc_co_u32_e32 v22, vcc, v22, v20, vcc
	s_waitcnt lgkmcnt(1)
	global_store_short v[21:22], v23, off offset:-512
	s_waitcnt lgkmcnt(0)
	global_store_short v[21:22], v24, off
	s_add_u32 s6, s6, s26
	v_mov_b32_e32 v21, s24
	s_addc_u32 s7, s7, 0
	v_mov_b32_e32 v22, s25
	v_cmp_ge_i64_e32 vcc, s[6:7], v[21:22]
	v_mov_b32_e32 v23, s29
	v_add_co_u32_e64 v19, s[20:21], s28, v19
	v_addc_co_u32_e64 v20, s[20:21], v20, v23, s[20:21]
	s_cbranch_vccnz .LBB19_41
.LBB19_3:                               ; =>This Inner Loop Header: Depth=1
	v_mov_b32_e32 v22, s23
	v_add_co_u32_e32 v21, vcc, s22, v19
	v_addc_co_u32_e32 v22, vcc, v22, v20, vcc
	global_load_ushort v23, v[21:22], off
	global_load_ushort v24, v[21:22], off offset:512
	s_waitcnt vmcnt(1)
	ds_write_b16 v1, v23
	s_waitcnt vmcnt(0)
	ds_write_b16 v2, v24 offset:512
	s_waitcnt lgkmcnt(0)
	s_barrier
	s_and_saveexec_b64 s[20:21], s[2:3]
	s_cbranch_execz .LBB19_5
; %bb.4:                                ;   in Loop: Header=BB19_3 Depth=1
	ds_read_u16 v21, v3
	ds_read_u16 v22, v3 offset:2
	s_waitcnt lgkmcnt(0)
	v_add_u16_e32 v21, v22, v21
	ds_write_b16 v3, v21 offset:2
.LBB19_5:                               ;   in Loop: Header=BB19_3 Depth=1
	s_or_b64 exec, exec, s[20:21]
	s_waitcnt lgkmcnt(0)
	s_barrier
	s_and_saveexec_b64 s[20:21], s[4:5]
	s_cbranch_execz .LBB19_7
; %bb.6:                                ;   in Loop: Header=BB19_3 Depth=1
	ds_read_u16 v21, v4
	ds_read_u16 v22, v5
	s_waitcnt lgkmcnt(0)
	v_add_u16_e32 v21, v22, v21
	ds_write_b16 v5, v21
.LBB19_7:                               ;   in Loop: Header=BB19_3 Depth=1
	s_or_b64 exec, exec, s[20:21]
	s_waitcnt lgkmcnt(0)
	s_barrier
	s_and_saveexec_b64 s[20:21], s[8:9]
	s_cbranch_execz .LBB19_9
; %bb.8:                                ;   in Loop: Header=BB19_3 Depth=1
	ds_read_u16 v21, v6
	ds_read_u16 v22, v7
	s_waitcnt lgkmcnt(0)
	v_add_u16_e32 v21, v22, v21
	ds_write_b16 v7, v21
.LBB19_9:                               ;   in Loop: Header=BB19_3 Depth=1
	s_or_b64 exec, exec, s[20:21]
	s_waitcnt lgkmcnt(0)
	s_barrier
	s_and_saveexec_b64 s[20:21], s[10:11]
	s_cbranch_execz .LBB19_11
; %bb.10:                               ;   in Loop: Header=BB19_3 Depth=1
	ds_read_u16 v21, v8
	ds_read_u16 v22, v9
	s_waitcnt lgkmcnt(0)
	v_add_u16_e32 v21, v22, v21
	ds_write_b16 v9, v21
.LBB19_11:                              ;   in Loop: Header=BB19_3 Depth=1
	s_or_b64 exec, exec, s[20:21]
	s_waitcnt lgkmcnt(0)
	s_barrier
	s_and_saveexec_b64 s[20:21], s[12:13]
	s_cbranch_execz .LBB19_13
; %bb.12:                               ;   in Loop: Header=BB19_3 Depth=1
	ds_read_u16 v21, v10
	ds_read_u16 v22, v11
	s_waitcnt lgkmcnt(0)
	v_add_u16_e32 v21, v22, v21
	ds_write_b16 v11, v21
.LBB19_13:                              ;   in Loop: Header=BB19_3 Depth=1
	;; [unrolled: 12-line block ×5, first 2 shown]
	s_or_b64 exec, exec, s[20:21]
	s_waitcnt lgkmcnt(0)
	s_barrier
	s_and_saveexec_b64 s[20:21], s[0:1]
	s_cbranch_execz .LBB19_21
; %bb.20:                               ;   in Loop: Header=BB19_3 Depth=1
	ds_read_u16 v21, v18 offset:524
	ds_read_u16 v22, v18 offset:1052
	s_waitcnt lgkmcnt(0)
	v_add_u32_e32 v21, v22, v21
	ds_write_b16 v18, v21 offset:1052
.LBB19_21:                              ;   in Loop: Header=BB19_3 Depth=1
	s_or_b64 exec, exec, s[20:21]
	s_and_saveexec_b64 s[20:21], s[0:1]
; %bb.22:                               ;   in Loop: Header=BB19_3 Depth=1
	ds_write_b16 v18, v18 offset:1052
; %bb.23:                               ;   in Loop: Header=BB19_3 Depth=1
	s_or_b64 exec, exec, s[20:21]
	s_waitcnt lgkmcnt(0)
	s_barrier
	s_and_saveexec_b64 s[20:21], s[0:1]
	s_cbranch_execz .LBB19_25
; %bb.24:                               ;   in Loop: Header=BB19_3 Depth=1
	ds_read_u16 v21, v18 offset:1052
	ds_read_u16 v22, v18 offset:524
	s_waitcnt lgkmcnt(1)
	ds_write_b16 v18, v21 offset:524
	s_waitcnt lgkmcnt(1)
	v_add_u32_e32 v21, v21, v22
	ds_write_b16 v18, v21 offset:1052
.LBB19_25:                              ;   in Loop: Header=BB19_3 Depth=1
	s_or_b64 exec, exec, s[20:21]
	s_waitcnt lgkmcnt(0)
	s_barrier
	s_and_saveexec_b64 s[20:21], s[18:19]
	s_cbranch_execz .LBB19_27
; %bb.26:                               ;   in Loop: Header=BB19_3 Depth=1
	ds_read_u16 v21, v17
	ds_read_u16 v22, v16
	s_waitcnt lgkmcnt(1)
	ds_write_b16 v16, v21
	s_waitcnt lgkmcnt(1)
	v_add_u16_e32 v21, v21, v22
	ds_write_b16 v17, v21
.LBB19_27:                              ;   in Loop: Header=BB19_3 Depth=1
	s_or_b64 exec, exec, s[20:21]
	s_waitcnt lgkmcnt(0)
	s_barrier
	s_and_saveexec_b64 s[20:21], s[16:17]
	s_cbranch_execz .LBB19_29
; %bb.28:                               ;   in Loop: Header=BB19_3 Depth=1
	ds_read_u16 v21, v15
	ds_read_u16 v22, v14
	s_waitcnt lgkmcnt(1)
	ds_write_b16 v14, v21
	s_waitcnt lgkmcnt(1)
	v_add_u16_e32 v21, v21, v22
	ds_write_b16 v15, v21
.LBB19_29:                              ;   in Loop: Header=BB19_3 Depth=1
	;; [unrolled: 14-line block ×7, first 2 shown]
	s_or_b64 exec, exec, s[20:21]
	s_waitcnt lgkmcnt(0)
	s_barrier
	s_and_saveexec_b64 s[20:21], s[2:3]
	s_cbranch_execz .LBB19_2
; %bb.40:                               ;   in Loop: Header=BB19_3 Depth=1
	ds_read_u16 v21, v0 offset:2
	ds_read_u16 v22, v0
	s_waitcnt lgkmcnt(1)
	ds_write_b16 v0, v21
	s_waitcnt lgkmcnt(1)
	v_add_u16_e32 v21, v21, v22
	ds_write_b16 v0, v21 offset:2
	s_branch .LBB19_2
.LBB19_41:
	s_endpgm
	.section	.rodata,"a",@progbits
	.p2align	6, 0x0
	.amdhsa_kernel _Z9scan_bcaoIsLi512EEvlPT_PKS0_
		.amdhsa_group_segment_fixed_size 2048
		.amdhsa_private_segment_fixed_size 0
		.amdhsa_kernarg_size 280
		.amdhsa_user_sgpr_count 6
		.amdhsa_user_sgpr_private_segment_buffer 1
		.amdhsa_user_sgpr_dispatch_ptr 0
		.amdhsa_user_sgpr_queue_ptr 0
		.amdhsa_user_sgpr_kernarg_segment_ptr 1
		.amdhsa_user_sgpr_dispatch_id 0
		.amdhsa_user_sgpr_flat_scratch_init 0
		.amdhsa_user_sgpr_private_segment_size 0
		.amdhsa_uses_dynamic_stack 0
		.amdhsa_system_sgpr_private_segment_wavefront_offset 0
		.amdhsa_system_sgpr_workgroup_id_x 1
		.amdhsa_system_sgpr_workgroup_id_y 0
		.amdhsa_system_sgpr_workgroup_id_z 0
		.amdhsa_system_sgpr_workgroup_info 0
		.amdhsa_system_vgpr_workitem_id 0
		.amdhsa_next_free_vgpr 29
		.amdhsa_next_free_sgpr 61
		.amdhsa_reserve_vcc 1
		.amdhsa_reserve_flat_scratch 0
		.amdhsa_float_round_mode_32 0
		.amdhsa_float_round_mode_16_64 0
		.amdhsa_float_denorm_mode_32 3
		.amdhsa_float_denorm_mode_16_64 3
		.amdhsa_dx10_clamp 1
		.amdhsa_ieee_mode 1
		.amdhsa_fp16_overflow 0
		.amdhsa_exception_fp_ieee_invalid_op 0
		.amdhsa_exception_fp_denorm_src 0
		.amdhsa_exception_fp_ieee_div_zero 0
		.amdhsa_exception_fp_ieee_overflow 0
		.amdhsa_exception_fp_ieee_underflow 0
		.amdhsa_exception_fp_ieee_inexact 0
		.amdhsa_exception_int_div_zero 0
	.end_amdhsa_kernel
	.section	.text._Z9scan_bcaoIsLi512EEvlPT_PKS0_,"axG",@progbits,_Z9scan_bcaoIsLi512EEvlPT_PKS0_,comdat
.Lfunc_end19:
	.size	_Z9scan_bcaoIsLi512EEvlPT_PKS0_, .Lfunc_end19-_Z9scan_bcaoIsLi512EEvlPT_PKS0_
                                        ; -- End function
	.set _Z9scan_bcaoIsLi512EEvlPT_PKS0_.num_vgpr, 25
	.set _Z9scan_bcaoIsLi512EEvlPT_PKS0_.num_agpr, 0
	.set _Z9scan_bcaoIsLi512EEvlPT_PKS0_.numbered_sgpr, 31
	.set _Z9scan_bcaoIsLi512EEvlPT_PKS0_.num_named_barrier, 0
	.set _Z9scan_bcaoIsLi512EEvlPT_PKS0_.private_seg_size, 0
	.set _Z9scan_bcaoIsLi512EEvlPT_PKS0_.uses_vcc, 1
	.set _Z9scan_bcaoIsLi512EEvlPT_PKS0_.uses_flat_scratch, 0
	.set _Z9scan_bcaoIsLi512EEvlPT_PKS0_.has_dyn_sized_stack, 0
	.set _Z9scan_bcaoIsLi512EEvlPT_PKS0_.has_recursion, 0
	.set _Z9scan_bcaoIsLi512EEvlPT_PKS0_.has_indirect_call, 0
	.section	.AMDGPU.csdata,"",@progbits
; Kernel info:
; codeLenInByte = 1864
; TotalNumSgprs: 35
; NumVgprs: 25
; ScratchSize: 0
; MemoryBound: 0
; FloatMode: 240
; IeeeMode: 1
; LDSByteSize: 2048 bytes/workgroup (compile time only)
; SGPRBlocks: 8
; VGPRBlocks: 7
; NumSGPRsForWavesPerEU: 65
; NumVGPRsForWavesPerEU: 29
; Occupancy: 8
; WaveLimiterHint : 1
; COMPUTE_PGM_RSRC2:SCRATCH_EN: 0
; COMPUTE_PGM_RSRC2:USER_SGPR: 6
; COMPUTE_PGM_RSRC2:TRAP_HANDLER: 0
; COMPUTE_PGM_RSRC2:TGID_X_EN: 1
; COMPUTE_PGM_RSRC2:TGID_Y_EN: 0
; COMPUTE_PGM_RSRC2:TGID_Z_EN: 0
; COMPUTE_PGM_RSRC2:TIDIG_COMP_CNT: 0
	.section	.text._Z4scanIiLi512EEvlPT_PKS0_,"axG",@progbits,_Z4scanIiLi512EEvlPT_PKS0_,comdat
	.protected	_Z4scanIiLi512EEvlPT_PKS0_ ; -- Begin function _Z4scanIiLi512EEvlPT_PKS0_
	.globl	_Z4scanIiLi512EEvlPT_PKS0_
	.p2align	8
	.type	_Z4scanIiLi512EEvlPT_PKS0_,@function
_Z4scanIiLi512EEvlPT_PKS0_:             ; @_Z4scanIiLi512EEvlPT_PKS0_
; %bb.0:
	s_load_dwordx2 s[28:29], s[4:5], 0x0
	s_mov_b32 s7, 0
	v_mov_b32_e32 v1, s6
	v_mov_b32_e32 v2, s7
	s_waitcnt lgkmcnt(0)
	v_cmp_le_i64_e32 vcc, s[28:29], v[1:2]
	s_cbranch_vccnz .LBB20_43
; %bb.1:
	v_lshlrev_b32_e32 v1, 1, v0
	v_or_b32_e32 v15, 1, v1
	v_add_u32_e32 v1, 2, v1
	s_load_dwordx4 s[24:27], s[4:5], 0x8
	s_load_dword s30, s[4:5], 0x18
	v_lshlrev_b32_e32 v5, 3, v15
	v_lshlrev_b32_e32 v6, 3, v1
	v_add_u32_e32 v3, -4, v5
	v_add_u32_e32 v4, -4, v6
	v_add_u32_e32 v5, v3, v5
	v_add_u32_e32 v6, v4, v6
	v_lshl_add_u32 v7, v15, 4, v5
	v_lshl_add_u32 v8, v1, 4, v6
	s_mov_b32 s31, s7
	v_lshl_add_u32 v9, v15, 5, v7
	v_lshl_add_u32 v10, v1, 5, v8
	v_lshlrev_b32_e32 v2, 3, v0
	s_movk_i32 s2, 0x100
	s_movk_i32 s4, 0xff
	;; [unrolled: 1-line block ×3, first 2 shown]
	v_lshl_add_u32 v11, v15, 6, v9
	v_lshl_add_u32 v12, v1, 6, v10
	s_lshl_b64 s[22:23], s[6:7], 11
	s_waitcnt lgkmcnt(0)
	s_lshl_b64 s[34:35], s[30:31], 11
	v_cmp_eq_u32_e64 s[0:1], 0, v0
	v_cmp_gt_u32_e64 s[2:3], s2, v0
	v_cmp_lt_u32_e64 s[4:5], s4, v0
	v_cmp_gt_u32_e64 s[8:9], s8, v0
	v_cmp_gt_u32_e64 s[10:11], 64, v0
	;; [unrolled: 1-line block ×6, first 2 shown]
	v_lshl_add_u32 v13, v15, 7, v11
	v_lshl_add_u32 v14, v1, 7, v12
	v_cmp_gt_u32_e64 s[20:21], 2, v0
	v_mov_b32_e32 v0, s23
	v_add_co_u32_e32 v18, vcc, s22, v2
	s_add_u32 s24, s24, 4
	s_movk_i32 s22, 0xfc
	v_lshl_add_u32 v15, v15, 8, v13
	v_lshl_add_u32 v16, v1, 8, v14
	v_mov_b32_e32 v17, 0
	v_addc_co_u32_e32 v19, vcc, 0, v0, vcc
	s_addc_u32 s25, s25, 0
	v_mov_b32_e32 v20, s27
	v_add_u32_e64 v21, s22, 0
	s_branch .LBB20_3
.LBB20_2:                               ;   in Loop: Header=BB20_3 Depth=1
	s_or_b64 exec, exec, s[22:23]
	v_mov_b32_e32 v23, s25
	v_add_co_u32_e32 v22, vcc, s24, v18
	v_addc_co_u32_e32 v23, vcc, v23, v19, vcc
	s_waitcnt lgkmcnt(0)
	global_store_dwordx2 v[22:23], v[0:1], off offset:-4
	s_add_u32 s6, s6, s30
	v_mov_b32_e32 v0, s28
	s_addc_u32 s7, s7, 0
	v_mov_b32_e32 v1, s29
	v_cmp_ge_i64_e32 vcc, s[6:7], v[0:1]
	v_mov_b32_e32 v22, s35
	v_add_co_u32_e64 v18, s[22:23], s34, v18
	v_addc_co_u32_e64 v19, s[22:23], v19, v22, s[22:23]
	s_cbranch_vccnz .LBB20_43
.LBB20_3:                               ; =>This Inner Loop Header: Depth=1
	v_add_co_u32_e32 v0, vcc, s26, v18
	v_addc_co_u32_e32 v1, vcc, v20, v19, vcc
	global_load_dwordx2 v[0:1], v[0:1], off
	s_waitcnt vmcnt(0)
	ds_write_b64 v2, v[0:1]
	s_waitcnt lgkmcnt(0)
	s_barrier
	s_and_saveexec_b64 s[22:23], s[2:3]
	s_cbranch_execz .LBB20_5
; %bb.4:                                ;   in Loop: Header=BB20_3 Depth=1
	ds_read_b64 v[0:1], v2
	s_waitcnt lgkmcnt(0)
	v_add_u32_e32 v0, v1, v0
	ds_write_b32 v2, v0 offset:4
.LBB20_5:                               ;   in Loop: Header=BB20_3 Depth=1
	s_or_b64 exec, exec, s[22:23]
	s_waitcnt lgkmcnt(0)
	s_barrier
	s_and_saveexec_b64 s[22:23], s[8:9]
	s_cbranch_execz .LBB20_7
; %bb.6:                                ;   in Loop: Header=BB20_3 Depth=1
	ds_read_b32 v0, v3
	ds_read_b32 v1, v4
	s_waitcnt lgkmcnt(0)
	v_add_u32_e32 v0, v1, v0
	ds_write_b32 v4, v0
.LBB20_7:                               ;   in Loop: Header=BB20_3 Depth=1
	s_or_b64 exec, exec, s[22:23]
	s_waitcnt lgkmcnt(0)
	s_barrier
	s_and_saveexec_b64 s[22:23], s[10:11]
	s_cbranch_execz .LBB20_9
; %bb.8:                                ;   in Loop: Header=BB20_3 Depth=1
	ds_read_b32 v0, v5
	ds_read_b32 v1, v6
	s_waitcnt lgkmcnt(0)
	v_add_u32_e32 v0, v1, v0
	ds_write_b32 v6, v0
.LBB20_9:                               ;   in Loop: Header=BB20_3 Depth=1
	s_or_b64 exec, exec, s[22:23]
	s_waitcnt lgkmcnt(0)
	s_barrier
	s_and_saveexec_b64 s[22:23], s[12:13]
	s_cbranch_execz .LBB20_11
; %bb.10:                               ;   in Loop: Header=BB20_3 Depth=1
	ds_read_b32 v0, v7
	ds_read_b32 v1, v8
	s_waitcnt lgkmcnt(0)
	v_add_u32_e32 v0, v1, v0
	ds_write_b32 v8, v0
.LBB20_11:                              ;   in Loop: Header=BB20_3 Depth=1
	s_or_b64 exec, exec, s[22:23]
	s_waitcnt lgkmcnt(0)
	s_barrier
	s_and_saveexec_b64 s[22:23], s[14:15]
	s_cbranch_execz .LBB20_13
; %bb.12:                               ;   in Loop: Header=BB20_3 Depth=1
	ds_read_b32 v0, v9
	ds_read_b32 v1, v10
	s_waitcnt lgkmcnt(0)
	v_add_u32_e32 v0, v1, v0
	ds_write_b32 v10, v0
.LBB20_13:                              ;   in Loop: Header=BB20_3 Depth=1
	;; [unrolled: 12-line block ×5, first 2 shown]
	s_or_b64 exec, exec, s[22:23]
	s_waitcnt lgkmcnt(0)
	s_barrier
	s_and_saveexec_b64 s[22:23], s[0:1]
	s_cbranch_execz .LBB20_21
; %bb.20:                               ;   in Loop: Header=BB20_3 Depth=1
	ds_read2st64_b32 v[0:1], v21 offset0:3 offset1:7
	s_waitcnt lgkmcnt(0)
	v_add_u32_e32 v0, v1, v0
	ds_write_b32 v17, v0 offset:2044
.LBB20_21:                              ;   in Loop: Header=BB20_3 Depth=1
	s_or_b64 exec, exec, s[22:23]
	s_and_saveexec_b64 s[22:23], s[0:1]
; %bb.22:                               ;   in Loop: Header=BB20_3 Depth=1
	ds_write_b32 v17, v17 offset:2044
; %bb.23:                               ;   in Loop: Header=BB20_3 Depth=1
	s_or_b64 exec, exec, s[22:23]
	s_waitcnt lgkmcnt(0)
	s_barrier
	s_and_saveexec_b64 s[22:23], s[0:1]
	s_cbranch_execz .LBB20_25
; %bb.24:                               ;   in Loop: Header=BB20_3 Depth=1
	ds_read2st64_b32 v[0:1], v21 offset0:3 offset1:7
	s_waitcnt lgkmcnt(0)
	v_add_u32_e32 v0, v1, v0
	ds_write2st64_b32 v21, v1, v0 offset0:3 offset1:7
.LBB20_25:                              ;   in Loop: Header=BB20_3 Depth=1
	s_or_b64 exec, exec, s[22:23]
	s_waitcnt lgkmcnt(0)
	s_barrier
	s_and_saveexec_b64 s[22:23], s[20:21]
	s_cbranch_execz .LBB20_27
; %bb.26:                               ;   in Loop: Header=BB20_3 Depth=1
	ds_read_b32 v0, v16
	ds_read_b32 v1, v15
	s_waitcnt lgkmcnt(1)
	ds_write_b32 v15, v0
	s_waitcnt lgkmcnt(1)
	v_add_u32_e32 v0, v0, v1
	ds_write_b32 v16, v0
.LBB20_27:                              ;   in Loop: Header=BB20_3 Depth=1
	s_or_b64 exec, exec, s[22:23]
	s_waitcnt lgkmcnt(0)
	s_barrier
	s_and_saveexec_b64 s[22:23], s[18:19]
	s_cbranch_execz .LBB20_29
; %bb.28:                               ;   in Loop: Header=BB20_3 Depth=1
	ds_read_b32 v0, v14
	ds_read_b32 v1, v13
	s_waitcnt lgkmcnt(1)
	ds_write_b32 v13, v0
	s_waitcnt lgkmcnt(1)
	v_add_u32_e32 v0, v0, v1
	ds_write_b32 v14, v0
.LBB20_29:                              ;   in Loop: Header=BB20_3 Depth=1
	s_or_b64 exec, exec, s[22:23]
	s_waitcnt lgkmcnt(0)
	s_barrier
	s_and_saveexec_b64 s[22:23], s[16:17]
	s_cbranch_execz .LBB20_31
; %bb.30:                               ;   in Loop: Header=BB20_3 Depth=1
	ds_read_b32 v0, v12
	ds_read_b32 v1, v11
	s_waitcnt lgkmcnt(1)
	ds_write_b32 v11, v0
	s_waitcnt lgkmcnt(1)
	v_add_u32_e32 v0, v0, v1
	ds_write_b32 v12, v0
.LBB20_31:                              ;   in Loop: Header=BB20_3 Depth=1
	s_or_b64 exec, exec, s[22:23]
	s_waitcnt lgkmcnt(0)
	s_barrier
	s_and_saveexec_b64 s[22:23], s[14:15]
	s_cbranch_execz .LBB20_33
; %bb.32:                               ;   in Loop: Header=BB20_3 Depth=1
	ds_read_b32 v0, v10
	ds_read_b32 v1, v9
	s_waitcnt lgkmcnt(1)
	ds_write_b32 v9, v0
	s_waitcnt lgkmcnt(1)
	v_add_u32_e32 v0, v0, v1
	ds_write_b32 v10, v0
.LBB20_33:                              ;   in Loop: Header=BB20_3 Depth=1
	s_or_b64 exec, exec, s[22:23]
	s_waitcnt lgkmcnt(0)
	s_barrier
	s_and_saveexec_b64 s[22:23], s[12:13]
	s_cbranch_execz .LBB20_35
; %bb.34:                               ;   in Loop: Header=BB20_3 Depth=1
	ds_read_b32 v0, v8
	ds_read_b32 v1, v7
	s_waitcnt lgkmcnt(1)
	ds_write_b32 v7, v0
	s_waitcnt lgkmcnt(1)
	v_add_u32_e32 v0, v0, v1
	ds_write_b32 v8, v0
.LBB20_35:                              ;   in Loop: Header=BB20_3 Depth=1
	s_or_b64 exec, exec, s[22:23]
	s_waitcnt lgkmcnt(0)
	s_barrier
	s_and_saveexec_b64 s[22:23], s[10:11]
	s_cbranch_execz .LBB20_37
; %bb.36:                               ;   in Loop: Header=BB20_3 Depth=1
	ds_read_b32 v0, v6
	ds_read_b32 v1, v5
	s_waitcnt lgkmcnt(1)
	ds_write_b32 v5, v0
	s_waitcnt lgkmcnt(1)
	v_add_u32_e32 v0, v0, v1
	ds_write_b32 v6, v0
.LBB20_37:                              ;   in Loop: Header=BB20_3 Depth=1
	s_or_b64 exec, exec, s[22:23]
	s_waitcnt lgkmcnt(0)
	s_barrier
	s_and_saveexec_b64 s[22:23], s[8:9]
	s_cbranch_execz .LBB20_39
; %bb.38:                               ;   in Loop: Header=BB20_3 Depth=1
	ds_read_b32 v0, v4
	ds_read_b32 v1, v3
	s_waitcnt lgkmcnt(1)
	ds_write_b32 v3, v0
	s_waitcnt lgkmcnt(1)
	v_add_u32_e32 v0, v0, v1
	ds_write_b32 v4, v0
.LBB20_39:                              ;   in Loop: Header=BB20_3 Depth=1
	s_or_b64 exec, exec, s[22:23]
	s_waitcnt lgkmcnt(0)
	s_barrier
                                        ; implicit-def: $vgpr0
	s_and_saveexec_b64 s[22:23], s[4:5]
	s_xor_b64 s[22:23], exec, s[22:23]
; %bb.40:                               ;   in Loop: Header=BB20_3 Depth=1
	ds_read_b64 v[0:1], v2
; %bb.41:                               ;   in Loop: Header=BB20_3 Depth=1
	s_andn2_saveexec_b64 s[22:23], s[22:23]
	s_cbranch_execz .LBB20_2
; %bb.42:                               ;   in Loop: Header=BB20_3 Depth=1
	ds_read_b64 v[22:23], v2
	s_waitcnt lgkmcnt(0)
	v_add_u32_e32 v1, v23, v22
	v_mov_b32_e32 v0, v23
	ds_write_b64 v2, v[0:1]
	s_branch .LBB20_2
.LBB20_43:
	s_endpgm
	.section	.rodata,"a",@progbits
	.p2align	6, 0x0
	.amdhsa_kernel _Z4scanIiLi512EEvlPT_PKS0_
		.amdhsa_group_segment_fixed_size 2048
		.amdhsa_private_segment_fixed_size 0
		.amdhsa_kernarg_size 280
		.amdhsa_user_sgpr_count 6
		.amdhsa_user_sgpr_private_segment_buffer 1
		.amdhsa_user_sgpr_dispatch_ptr 0
		.amdhsa_user_sgpr_queue_ptr 0
		.amdhsa_user_sgpr_kernarg_segment_ptr 1
		.amdhsa_user_sgpr_dispatch_id 0
		.amdhsa_user_sgpr_flat_scratch_init 0
		.amdhsa_user_sgpr_private_segment_size 0
		.amdhsa_uses_dynamic_stack 0
		.amdhsa_system_sgpr_private_segment_wavefront_offset 0
		.amdhsa_system_sgpr_workgroup_id_x 1
		.amdhsa_system_sgpr_workgroup_id_y 0
		.amdhsa_system_sgpr_workgroup_id_z 0
		.amdhsa_system_sgpr_workgroup_info 0
		.amdhsa_system_vgpr_workitem_id 0
		.amdhsa_next_free_vgpr 29
		.amdhsa_next_free_sgpr 61
		.amdhsa_reserve_vcc 1
		.amdhsa_reserve_flat_scratch 0
		.amdhsa_float_round_mode_32 0
		.amdhsa_float_round_mode_16_64 0
		.amdhsa_float_denorm_mode_32 3
		.amdhsa_float_denorm_mode_16_64 3
		.amdhsa_dx10_clamp 1
		.amdhsa_ieee_mode 1
		.amdhsa_fp16_overflow 0
		.amdhsa_exception_fp_ieee_invalid_op 0
		.amdhsa_exception_fp_denorm_src 0
		.amdhsa_exception_fp_ieee_div_zero 0
		.amdhsa_exception_fp_ieee_overflow 0
		.amdhsa_exception_fp_ieee_underflow 0
		.amdhsa_exception_fp_ieee_inexact 0
		.amdhsa_exception_int_div_zero 0
	.end_amdhsa_kernel
	.section	.text._Z4scanIiLi512EEvlPT_PKS0_,"axG",@progbits,_Z4scanIiLi512EEvlPT_PKS0_,comdat
.Lfunc_end20:
	.size	_Z4scanIiLi512EEvlPT_PKS0_, .Lfunc_end20-_Z4scanIiLi512EEvlPT_PKS0_
                                        ; -- End function
	.set _Z4scanIiLi512EEvlPT_PKS0_.num_vgpr, 24
	.set _Z4scanIiLi512EEvlPT_PKS0_.num_agpr, 0
	.set _Z4scanIiLi512EEvlPT_PKS0_.numbered_sgpr, 36
	.set _Z4scanIiLi512EEvlPT_PKS0_.num_named_barrier, 0
	.set _Z4scanIiLi512EEvlPT_PKS0_.private_seg_size, 0
	.set _Z4scanIiLi512EEvlPT_PKS0_.uses_vcc, 1
	.set _Z4scanIiLi512EEvlPT_PKS0_.uses_flat_scratch, 0
	.set _Z4scanIiLi512EEvlPT_PKS0_.has_dyn_sized_stack, 0
	.set _Z4scanIiLi512EEvlPT_PKS0_.has_recursion, 0
	.set _Z4scanIiLi512EEvlPT_PKS0_.has_indirect_call, 0
	.section	.AMDGPU.csdata,"",@progbits
; Kernel info:
; codeLenInByte = 1448
; TotalNumSgprs: 40
; NumVgprs: 24
; ScratchSize: 0
; MemoryBound: 0
; FloatMode: 240
; IeeeMode: 1
; LDSByteSize: 2048 bytes/workgroup (compile time only)
; SGPRBlocks: 8
; VGPRBlocks: 7
; NumSGPRsForWavesPerEU: 65
; NumVGPRsForWavesPerEU: 29
; Occupancy: 8
; WaveLimiterHint : 0
; COMPUTE_PGM_RSRC2:SCRATCH_EN: 0
; COMPUTE_PGM_RSRC2:USER_SGPR: 6
; COMPUTE_PGM_RSRC2:TRAP_HANDLER: 0
; COMPUTE_PGM_RSRC2:TGID_X_EN: 1
; COMPUTE_PGM_RSRC2:TGID_Y_EN: 0
; COMPUTE_PGM_RSRC2:TGID_Z_EN: 0
; COMPUTE_PGM_RSRC2:TIDIG_COMP_CNT: 0
	.section	.text._Z9scan_bcaoIiLi512EEvlPT_PKS0_,"axG",@progbits,_Z9scan_bcaoIiLi512EEvlPT_PKS0_,comdat
	.protected	_Z9scan_bcaoIiLi512EEvlPT_PKS0_ ; -- Begin function _Z9scan_bcaoIiLi512EEvlPT_PKS0_
	.globl	_Z9scan_bcaoIiLi512EEvlPT_PKS0_
	.p2align	8
	.type	_Z9scan_bcaoIiLi512EEvlPT_PKS0_,@function
_Z9scan_bcaoIiLi512EEvlPT_PKS0_:        ; @_Z9scan_bcaoIiLi512EEvlPT_PKS0_
; %bb.0:
	s_load_dwordx2 s[24:25], s[4:5], 0x0
	s_mov_b32 s7, 0
	v_mov_b32_e32 v1, s6
	v_mov_b32_e32 v2, s7
	s_waitcnt lgkmcnt(0)
	v_cmp_le_i64_e32 vcc, s[24:25], v[1:2]
	s_cbranch_vccnz .LBB21_41
; %bb.1:
	v_lshlrev_b32_e32 v3, 1, v0
	v_or_b32_e32 v16, 1, v3
	v_add_u32_e32 v17, 2, v3
	v_lshlrev_b32_e32 v6, 1, v16
	v_lshlrev_b32_e32 v8, 1, v17
	v_add_u32_e32 v7, -1, v6
	v_add_u32_e32 v9, -1, v8
	v_lshrrev_b32_e32 v5, 3, v9
	v_add_u32_e32 v11, v7, v6
	v_lshrrev_b32_e32 v4, 3, v7
	v_lshlrev_b32_e32 v10, 2, v9
	v_and_b32_e32 v5, 0x1ffffffc, v5
	v_lshrrev_b32_e32 v6, 3, v11
	v_lshlrev_b32_e32 v12, 3, v17
	v_and_b32_e32 v4, 0x1fc, v4
	v_add_u32_e32 v5, v10, v5
	v_add_u32_e32 v8, v9, v8
	v_and_b32_e32 v6, 0x1ffffffc, v6
	v_add_u32_e32 v9, v10, v12
	v_lshl_add_u32 v10, v16, 2, v11
	v_lshl_add_u32 v4, v7, 2, v4
	;; [unrolled: 1-line block ×3, first 2 shown]
	v_lshrrev_b32_e32 v7, 3, v8
	v_lshl_add_u32 v11, v17, 2, v8
	v_lshrrev_b32_e32 v8, 3, v10
	v_and_b32_e32 v8, 0x1ffffffc, v8
	v_lshl_add_u32 v15, v16, 3, v10
	v_lshl_add_u32 v8, v10, 2, v8
	v_lshrrev_b32_e32 v10, 3, v15
	v_and_b32_e32 v7, 0x1ffffffc, v7
	v_lshlrev_b32_e32 v13, 4, v17
	v_and_b32_e32 v10, 0x1ffffffc, v10
	v_add_u32_e32 v7, v9, v7
	v_add_u32_e32 v14, v9, v13
	v_lshrrev_b32_e32 v9, 3, v11
	v_add_u32_e32 v12, v11, v12
	v_lshl_add_u32 v10, v15, 2, v10
	v_lshl_add_u32 v15, v16, 4, v15
	s_load_dwordx4 s[20:23], s[4:5], 0x8
	s_load_dword s26, s[4:5], 0x18
	v_and_b32_e32 v9, 0x1ffffffc, v9
	v_lshlrev_b32_e32 v20, 5, v17
	v_lshrrev_b32_e32 v11, 3, v12
	v_add_u32_e32 v21, v12, v13
	v_lshrrev_b32_e32 v12, 3, v15
	v_add_u32_e32 v9, v14, v9
	v_add_u32_e32 v14, v14, v20
	v_and_b32_e32 v12, 0x1ffffffc, v12
	v_lshlrev_b32_e32 v22, 6, v17
	v_add_u32_e32 v20, v21, v20
	v_add_u32_e32 v2, 0x100, v0
	v_lshl_add_u32 v12, v15, 2, v12
	v_lshl_add_u32 v24, v16, 5, v15
	v_lshrrev_b32_e32 v15, 3, v20
	v_add_u32_e32 v20, v20, v22
	v_lshrrev_b32_e32 v1, 3, v0
	v_lshrrev_b32_e32 v2, 3, v2
	;; [unrolled: 1-line block ×3, first 2 shown]
	v_add_u32_e32 v23, v14, v22
	v_lshrrev_b32_e32 v20, 3, v20
	v_lshlrev_b32_e32 v19, 2, v0
	v_and_b32_e32 v1, 0x7c, v1
	v_and_b32_e32 v2, 0xfc, v2
	s_mov_b32 s27, s7
	v_and_b32_e32 v18, 0xfc, v3
	v_and_b32_e32 v11, 0x1ffffffc, v11
	v_lshrrev_b32_e32 v13, 3, v21
	v_lshl_add_u32 v21, v17, 7, v23
	v_lshl_add_u32 v16, v16, 6, v24
	v_lshlrev_b32_e32 v17, 8, v17
	v_and_b32_e32 v20, 0x1ffffffc, v20
	s_lshl_b64 s[28:29], s[6:7], 11
	v_add_u32_e32 v1, v19, v1
	v_add_u32_e32 v2, v19, v2
	v_add3_u32 v3, v19, v19, v18
	v_add_u32_e32 v11, v14, v11
	v_lshrrev_b32_e32 v14, 3, v24
	v_lshrrev_b32_e32 v22, 3, v16
	v_add3_u32 v17, v21, v17, v20
	v_mov_b32_e32 v20, s29
	v_add_co_u32_e32 v19, vcc, s28, v19
	s_waitcnt lgkmcnt(0)
	s_lshl_b64 s[28:29], s[26:27], 11
	s_movk_i32 s2, 0x100
	s_movk_i32 s4, 0x80
	v_and_b32_e32 v13, 0x1ffffffc, v13
	v_and_b32_e32 v14, 0x1ffffffc, v14
	;; [unrolled: 1-line block ×4, first 2 shown]
	s_add_u32 s27, s20, 0x400
	v_cmp_eq_u32_e64 s[0:1], 0, v0
	v_cmp_gt_u32_e64 s[2:3], s2, v0
	v_cmp_gt_u32_e64 s[4:5], s4, v0
	;; [unrolled: 1-line block ×6, first 2 shown]
	v_add_u32_e32 v13, v23, v13
	v_cmp_gt_u32_e64 s[16:17], 4, v0
	v_lshl_add_u32 v14, v24, 2, v14
	v_add_u32_e32 v15, v21, v15
	v_cmp_gt_u32_e64 s[18:19], 2, v0
	v_lshl_add_u32 v16, v16, 2, v22
	v_lshl_add_u32 v0, v0, 3, v18
	v_mov_b32_e32 v18, 0
	v_addc_co_u32_e32 v20, vcc, 0, v20, vcc
	s_addc_u32 s30, s21, 0
	v_mov_b32_e32 v21, s23
	s_branch .LBB21_3
.LBB21_2:                               ;   in Loop: Header=BB21_3 Depth=1
	s_or_b64 exec, exec, s[20:21]
	s_waitcnt lgkmcnt(0)
	s_barrier
	ds_read_b32 v24, v1
	ds_read_b32 v25, v2 offset:1024
	v_mov_b32_e32 v23, s30
	v_add_co_u32_e32 v22, vcc, s27, v19
	v_addc_co_u32_e32 v23, vcc, v23, v20, vcc
	s_waitcnt lgkmcnt(1)
	global_store_dword v[22:23], v24, off offset:-1024
	s_waitcnt lgkmcnt(0)
	global_store_dword v[22:23], v25, off
	s_add_u32 s6, s6, s26
	v_mov_b32_e32 v22, s24
	s_addc_u32 s7, s7, 0
	v_mov_b32_e32 v23, s25
	v_cmp_ge_i64_e32 vcc, s[6:7], v[22:23]
	v_mov_b32_e32 v24, s29
	v_add_co_u32_e64 v19, s[20:21], s28, v19
	v_addc_co_u32_e64 v20, s[20:21], v20, v24, s[20:21]
	s_cbranch_vccnz .LBB21_41
.LBB21_3:                               ; =>This Inner Loop Header: Depth=1
	v_add_co_u32_e32 v22, vcc, s22, v19
	v_addc_co_u32_e32 v23, vcc, v21, v20, vcc
	global_load_dword v24, v[22:23], off
	global_load_dword v25, v[22:23], off offset:1024
	s_waitcnt vmcnt(1)
	ds_write_b32 v1, v24
	s_waitcnt vmcnt(0)
	ds_write_b32 v2, v25 offset:1024
	s_waitcnt lgkmcnt(0)
	s_barrier
	s_and_saveexec_b64 s[20:21], s[2:3]
	s_cbranch_execz .LBB21_5
; %bb.4:                                ;   in Loop: Header=BB21_3 Depth=1
	ds_read2_b32 v[22:23], v3 offset1:1
	s_waitcnt lgkmcnt(0)
	v_add_u32_e32 v22, v23, v22
	ds_write_b32 v3, v22 offset:4
.LBB21_5:                               ;   in Loop: Header=BB21_3 Depth=1
	s_or_b64 exec, exec, s[20:21]
	s_waitcnt lgkmcnt(0)
	s_barrier
	s_and_saveexec_b64 s[20:21], s[4:5]
	s_cbranch_execz .LBB21_7
; %bb.6:                                ;   in Loop: Header=BB21_3 Depth=1
	ds_read_b32 v22, v4
	ds_read_b32 v23, v5
	s_waitcnt lgkmcnt(0)
	v_add_u32_e32 v22, v23, v22
	ds_write_b32 v5, v22
.LBB21_7:                               ;   in Loop: Header=BB21_3 Depth=1
	s_or_b64 exec, exec, s[20:21]
	s_waitcnt lgkmcnt(0)
	s_barrier
	s_and_saveexec_b64 s[20:21], s[8:9]
	s_cbranch_execz .LBB21_9
; %bb.8:                                ;   in Loop: Header=BB21_3 Depth=1
	ds_read_b32 v22, v6
	ds_read_b32 v23, v7
	s_waitcnt lgkmcnt(0)
	v_add_u32_e32 v22, v23, v22
	ds_write_b32 v7, v22
.LBB21_9:                               ;   in Loop: Header=BB21_3 Depth=1
	s_or_b64 exec, exec, s[20:21]
	s_waitcnt lgkmcnt(0)
	s_barrier
	s_and_saveexec_b64 s[20:21], s[10:11]
	s_cbranch_execz .LBB21_11
; %bb.10:                               ;   in Loop: Header=BB21_3 Depth=1
	ds_read_b32 v22, v8
	ds_read_b32 v23, v9
	s_waitcnt lgkmcnt(0)
	v_add_u32_e32 v22, v23, v22
	ds_write_b32 v9, v22
.LBB21_11:                              ;   in Loop: Header=BB21_3 Depth=1
	s_or_b64 exec, exec, s[20:21]
	s_waitcnt lgkmcnt(0)
	s_barrier
	s_and_saveexec_b64 s[20:21], s[12:13]
	s_cbranch_execz .LBB21_13
; %bb.12:                               ;   in Loop: Header=BB21_3 Depth=1
	ds_read_b32 v22, v10
	ds_read_b32 v23, v11
	s_waitcnt lgkmcnt(0)
	v_add_u32_e32 v22, v23, v22
	ds_write_b32 v11, v22
.LBB21_13:                              ;   in Loop: Header=BB21_3 Depth=1
	;; [unrolled: 12-line block ×5, first 2 shown]
	s_or_b64 exec, exec, s[20:21]
	s_waitcnt lgkmcnt(0)
	s_barrier
	s_and_saveexec_b64 s[20:21], s[0:1]
	s_cbranch_execz .LBB21_21
; %bb.20:                               ;   in Loop: Header=BB21_3 Depth=1
	ds_read_b32 v22, v18 offset:1048
	ds_read_b32 v23, v18 offset:2104
	s_waitcnt lgkmcnt(0)
	v_add_u32_e32 v22, v23, v22
	ds_write_b32 v18, v22 offset:2104
.LBB21_21:                              ;   in Loop: Header=BB21_3 Depth=1
	s_or_b64 exec, exec, s[20:21]
	s_and_saveexec_b64 s[20:21], s[0:1]
; %bb.22:                               ;   in Loop: Header=BB21_3 Depth=1
	ds_write_b32 v18, v18 offset:2104
; %bb.23:                               ;   in Loop: Header=BB21_3 Depth=1
	s_or_b64 exec, exec, s[20:21]
	s_waitcnt lgkmcnt(0)
	s_barrier
	s_and_saveexec_b64 s[20:21], s[0:1]
	s_cbranch_execz .LBB21_25
; %bb.24:                               ;   in Loop: Header=BB21_3 Depth=1
	ds_read_b32 v22, v18 offset:2104
	ds_read_b32 v23, v18 offset:1048
	s_waitcnt lgkmcnt(1)
	ds_write_b32 v18, v22 offset:1048
	s_waitcnt lgkmcnt(1)
	v_add_u32_e32 v22, v22, v23
	ds_write_b32 v18, v22 offset:2104
.LBB21_25:                              ;   in Loop: Header=BB21_3 Depth=1
	s_or_b64 exec, exec, s[20:21]
	s_waitcnt lgkmcnt(0)
	s_barrier
	s_and_saveexec_b64 s[20:21], s[18:19]
	s_cbranch_execz .LBB21_27
; %bb.26:                               ;   in Loop: Header=BB21_3 Depth=1
	ds_read_b32 v22, v17
	ds_read_b32 v23, v16
	s_waitcnt lgkmcnt(1)
	ds_write_b32 v16, v22
	s_waitcnt lgkmcnt(1)
	v_add_u32_e32 v22, v22, v23
	ds_write_b32 v17, v22
.LBB21_27:                              ;   in Loop: Header=BB21_3 Depth=1
	s_or_b64 exec, exec, s[20:21]
	s_waitcnt lgkmcnt(0)
	s_barrier
	s_and_saveexec_b64 s[20:21], s[16:17]
	s_cbranch_execz .LBB21_29
; %bb.28:                               ;   in Loop: Header=BB21_3 Depth=1
	ds_read_b32 v22, v15
	ds_read_b32 v23, v14
	s_waitcnt lgkmcnt(1)
	ds_write_b32 v14, v22
	s_waitcnt lgkmcnt(1)
	v_add_u32_e32 v22, v22, v23
	ds_write_b32 v15, v22
.LBB21_29:                              ;   in Loop: Header=BB21_3 Depth=1
	s_or_b64 exec, exec, s[20:21]
	s_waitcnt lgkmcnt(0)
	s_barrier
	s_and_saveexec_b64 s[20:21], s[14:15]
	s_cbranch_execz .LBB21_31
; %bb.30:                               ;   in Loop: Header=BB21_3 Depth=1
	ds_read_b32 v22, v13
	ds_read_b32 v23, v12
	s_waitcnt lgkmcnt(1)
	ds_write_b32 v12, v22
	s_waitcnt lgkmcnt(1)
	v_add_u32_e32 v22, v22, v23
	ds_write_b32 v13, v22
.LBB21_31:                              ;   in Loop: Header=BB21_3 Depth=1
	s_or_b64 exec, exec, s[20:21]
	s_waitcnt lgkmcnt(0)
	s_barrier
	s_and_saveexec_b64 s[20:21], s[12:13]
	s_cbranch_execz .LBB21_33
; %bb.32:                               ;   in Loop: Header=BB21_3 Depth=1
	ds_read_b32 v22, v11
	ds_read_b32 v23, v10
	s_waitcnt lgkmcnt(1)
	ds_write_b32 v10, v22
	s_waitcnt lgkmcnt(1)
	v_add_u32_e32 v22, v22, v23
	ds_write_b32 v11, v22
.LBB21_33:                              ;   in Loop: Header=BB21_3 Depth=1
	s_or_b64 exec, exec, s[20:21]
	s_waitcnt lgkmcnt(0)
	s_barrier
	s_and_saveexec_b64 s[20:21], s[10:11]
	s_cbranch_execz .LBB21_35
; %bb.34:                               ;   in Loop: Header=BB21_3 Depth=1
	ds_read_b32 v22, v9
	ds_read_b32 v23, v8
	s_waitcnt lgkmcnt(1)
	ds_write_b32 v8, v22
	s_waitcnt lgkmcnt(1)
	v_add_u32_e32 v22, v22, v23
	ds_write_b32 v9, v22
.LBB21_35:                              ;   in Loop: Header=BB21_3 Depth=1
	s_or_b64 exec, exec, s[20:21]
	s_waitcnt lgkmcnt(0)
	s_barrier
	s_and_saveexec_b64 s[20:21], s[8:9]
	s_cbranch_execz .LBB21_37
; %bb.36:                               ;   in Loop: Header=BB21_3 Depth=1
	ds_read_b32 v22, v7
	ds_read_b32 v23, v6
	s_waitcnt lgkmcnt(1)
	ds_write_b32 v6, v22
	s_waitcnt lgkmcnt(1)
	v_add_u32_e32 v22, v22, v23
	ds_write_b32 v7, v22
.LBB21_37:                              ;   in Loop: Header=BB21_3 Depth=1
	s_or_b64 exec, exec, s[20:21]
	s_waitcnt lgkmcnt(0)
	s_barrier
	s_and_saveexec_b64 s[20:21], s[4:5]
	s_cbranch_execz .LBB21_39
; %bb.38:                               ;   in Loop: Header=BB21_3 Depth=1
	ds_read_b32 v22, v5
	ds_read_b32 v23, v4
	s_waitcnt lgkmcnt(1)
	ds_write_b32 v4, v22
	s_waitcnt lgkmcnt(1)
	v_add_u32_e32 v22, v22, v23
	ds_write_b32 v5, v22
.LBB21_39:                              ;   in Loop: Header=BB21_3 Depth=1
	s_or_b64 exec, exec, s[20:21]
	s_waitcnt lgkmcnt(0)
	s_barrier
	s_and_saveexec_b64 s[20:21], s[2:3]
	s_cbranch_execz .LBB21_2
; %bb.40:                               ;   in Loop: Header=BB21_3 Depth=1
	ds_read2_b32 v[22:23], v0 offset1:1
	s_waitcnt lgkmcnt(0)
	v_add_u32_e32 v22, v23, v22
	ds_write2_b32 v0, v23, v22 offset1:1
	s_branch .LBB21_2
.LBB21_41:
	s_endpgm
	.section	.rodata,"a",@progbits
	.p2align	6, 0x0
	.amdhsa_kernel _Z9scan_bcaoIiLi512EEvlPT_PKS0_
		.amdhsa_group_segment_fixed_size 4096
		.amdhsa_private_segment_fixed_size 0
		.amdhsa_kernarg_size 280
		.amdhsa_user_sgpr_count 6
		.amdhsa_user_sgpr_private_segment_buffer 1
		.amdhsa_user_sgpr_dispatch_ptr 0
		.amdhsa_user_sgpr_queue_ptr 0
		.amdhsa_user_sgpr_kernarg_segment_ptr 1
		.amdhsa_user_sgpr_dispatch_id 0
		.amdhsa_user_sgpr_flat_scratch_init 0
		.amdhsa_user_sgpr_private_segment_size 0
		.amdhsa_uses_dynamic_stack 0
		.amdhsa_system_sgpr_private_segment_wavefront_offset 0
		.amdhsa_system_sgpr_workgroup_id_x 1
		.amdhsa_system_sgpr_workgroup_id_y 0
		.amdhsa_system_sgpr_workgroup_id_z 0
		.amdhsa_system_sgpr_workgroup_info 0
		.amdhsa_system_vgpr_workitem_id 0
		.amdhsa_next_free_vgpr 29
		.amdhsa_next_free_sgpr 61
		.amdhsa_reserve_vcc 1
		.amdhsa_reserve_flat_scratch 0
		.amdhsa_float_round_mode_32 0
		.amdhsa_float_round_mode_16_64 0
		.amdhsa_float_denorm_mode_32 3
		.amdhsa_float_denorm_mode_16_64 3
		.amdhsa_dx10_clamp 1
		.amdhsa_ieee_mode 1
		.amdhsa_fp16_overflow 0
		.amdhsa_exception_fp_ieee_invalid_op 0
		.amdhsa_exception_fp_denorm_src 0
		.amdhsa_exception_fp_ieee_div_zero 0
		.amdhsa_exception_fp_ieee_overflow 0
		.amdhsa_exception_fp_ieee_underflow 0
		.amdhsa_exception_fp_ieee_inexact 0
		.amdhsa_exception_int_div_zero 0
	.end_amdhsa_kernel
	.section	.text._Z9scan_bcaoIiLi512EEvlPT_PKS0_,"axG",@progbits,_Z9scan_bcaoIiLi512EEvlPT_PKS0_,comdat
.Lfunc_end21:
	.size	_Z9scan_bcaoIiLi512EEvlPT_PKS0_, .Lfunc_end21-_Z9scan_bcaoIiLi512EEvlPT_PKS0_
                                        ; -- End function
	.set _Z9scan_bcaoIiLi512EEvlPT_PKS0_.num_vgpr, 26
	.set _Z9scan_bcaoIiLi512EEvlPT_PKS0_.num_agpr, 0
	.set _Z9scan_bcaoIiLi512EEvlPT_PKS0_.numbered_sgpr, 31
	.set _Z9scan_bcaoIiLi512EEvlPT_PKS0_.num_named_barrier, 0
	.set _Z9scan_bcaoIiLi512EEvlPT_PKS0_.private_seg_size, 0
	.set _Z9scan_bcaoIiLi512EEvlPT_PKS0_.uses_vcc, 1
	.set _Z9scan_bcaoIiLi512EEvlPT_PKS0_.uses_flat_scratch, 0
	.set _Z9scan_bcaoIiLi512EEvlPT_PKS0_.has_dyn_sized_stack, 0
	.set _Z9scan_bcaoIiLi512EEvlPT_PKS0_.has_recursion, 0
	.set _Z9scan_bcaoIiLi512EEvlPT_PKS0_.has_indirect_call, 0
	.section	.AMDGPU.csdata,"",@progbits
; Kernel info:
; codeLenInByte = 1848
; TotalNumSgprs: 35
; NumVgprs: 26
; ScratchSize: 0
; MemoryBound: 0
; FloatMode: 240
; IeeeMode: 1
; LDSByteSize: 4096 bytes/workgroup (compile time only)
; SGPRBlocks: 8
; VGPRBlocks: 7
; NumSGPRsForWavesPerEU: 65
; NumVGPRsForWavesPerEU: 29
; Occupancy: 8
; WaveLimiterHint : 1
; COMPUTE_PGM_RSRC2:SCRATCH_EN: 0
; COMPUTE_PGM_RSRC2:USER_SGPR: 6
; COMPUTE_PGM_RSRC2:TRAP_HANDLER: 0
; COMPUTE_PGM_RSRC2:TGID_X_EN: 1
; COMPUTE_PGM_RSRC2:TGID_Y_EN: 0
; COMPUTE_PGM_RSRC2:TGID_Z_EN: 0
; COMPUTE_PGM_RSRC2:TIDIG_COMP_CNT: 0
	.section	.text._Z4scanIlLi512EEvlPT_PKS0_,"axG",@progbits,_Z4scanIlLi512EEvlPT_PKS0_,comdat
	.protected	_Z4scanIlLi512EEvlPT_PKS0_ ; -- Begin function _Z4scanIlLi512EEvlPT_PKS0_
	.globl	_Z4scanIlLi512EEvlPT_PKS0_
	.p2align	8
	.type	_Z4scanIlLi512EEvlPT_PKS0_,@function
_Z4scanIlLi512EEvlPT_PKS0_:             ; @_Z4scanIlLi512EEvlPT_PKS0_
; %bb.0:
	s_load_dwordx2 s[28:29], s[4:5], 0x0
	s_mov_b32 s7, 0
	v_mov_b32_e32 v1, s6
	v_mov_b32_e32 v2, s7
	s_waitcnt lgkmcnt(0)
	v_cmp_le_i64_e32 vcc, s[28:29], v[1:2]
	s_cbranch_vccnz .LBB22_43
; %bb.1:
	v_lshlrev_b32_e32 v1, 1, v0
	v_or_b32_e32 v2, 1, v1
	v_add_u32_e32 v1, 2, v1
	s_load_dwordx4 s[24:27], s[4:5], 0x8
	s_load_dword s30, s[4:5], 0x18
	v_lshlrev_b32_e32 v3, 4, v2
	v_lshlrev_b32_e32 v4, 4, v1
	v_add_u32_e32 v7, -8, v3
	v_add_u32_e32 v8, -8, v4
	v_add_u32_e32 v9, v7, v3
	v_add_u32_e32 v10, v8, v4
	v_lshl_add_u32 v11, v2, 5, v9
	v_lshl_add_u32 v12, v1, 5, v10
	s_mov_b32 s31, s7
	v_lshl_add_u32 v13, v2, 6, v11
	v_lshl_add_u32 v14, v1, 6, v12
	v_lshlrev_b32_e32 v6, 4, v0
	s_movk_i32 s2, 0x100
	s_movk_i32 s4, 0xff
	;; [unrolled: 1-line block ×3, first 2 shown]
	v_lshl_add_u32 v15, v2, 7, v13
	v_lshl_add_u32 v16, v1, 7, v14
	s_lshl_b64 s[22:23], s[6:7], 12
	s_waitcnt lgkmcnt(0)
	s_lshl_b64 s[34:35], s[30:31], 12
	v_cmp_eq_u32_e64 s[0:1], 0, v0
	v_cmp_gt_u32_e64 s[2:3], s2, v0
	v_cmp_lt_u32_e64 s[4:5], s4, v0
	v_cmp_gt_u32_e64 s[8:9], s8, v0
	v_cmp_gt_u32_e64 s[10:11], 64, v0
	;; [unrolled: 1-line block ×6, first 2 shown]
	v_lshl_add_u32 v17, v2, 8, v15
	v_lshl_add_u32 v18, v1, 8, v16
	v_cmp_gt_u32_e64 s[20:21], 2, v0
	v_mov_b32_e32 v0, s23
	v_add_co_u32_e32 v21, vcc, s22, v6
	s_add_u32 s24, s24, 8
	v_lshl_add_u32 v19, v2, 9, v17
	v_lshl_add_u32 v20, v1, 9, v18
	v_mov_b32_e32 v4, 0
	v_addc_co_u32_e32 v22, vcc, 0, v0, vcc
	s_addc_u32 s25, s25, 0
	v_mov_b32_e32 v23, s27
	s_movk_i32 s27, 0x1f8
	s_branch .LBB22_3
.LBB22_2:                               ;   in Loop: Header=BB22_3 Depth=1
	s_or_b64 exec, exec, s[22:23]
	v_mov_b32_e32 v5, s25
	v_add_co_u32_e32 v24, vcc, s24, v21
	v_addc_co_u32_e32 v25, vcc, v5, v22, vcc
	s_waitcnt lgkmcnt(0)
	global_store_dwordx4 v[24:25], v[0:3], off offset:-8
	s_add_u32 s6, s6, s30
	v_mov_b32_e32 v0, s28
	s_addc_u32 s7, s7, 0
	v_mov_b32_e32 v1, s29
	v_cmp_ge_i64_e32 vcc, s[6:7], v[0:1]
	v_mov_b32_e32 v2, s35
	v_add_co_u32_e64 v21, s[22:23], s34, v21
	v_addc_co_u32_e64 v22, s[22:23], v22, v2, s[22:23]
	s_cbranch_vccnz .LBB22_43
.LBB22_3:                               ; =>This Inner Loop Header: Depth=1
	v_add_co_u32_e32 v0, vcc, s26, v21
	v_addc_co_u32_e32 v1, vcc, v23, v22, vcc
	global_load_dwordx4 v[0:3], v[0:1], off
	s_waitcnt vmcnt(0)
	ds_write_b128 v6, v[0:3]
	s_waitcnt lgkmcnt(0)
	s_barrier
	s_and_saveexec_b64 s[22:23], s[2:3]
	s_cbranch_execz .LBB22_5
; %bb.4:                                ;   in Loop: Header=BB22_3 Depth=1
	ds_read_b128 v[0:3], v6
	s_waitcnt lgkmcnt(0)
	v_add_co_u32_e32 v0, vcc, v2, v0
	v_addc_co_u32_e32 v1, vcc, v3, v1, vcc
	ds_write_b64 v6, v[0:1] offset:8
.LBB22_5:                               ;   in Loop: Header=BB22_3 Depth=1
	s_or_b64 exec, exec, s[22:23]
	s_waitcnt lgkmcnt(0)
	s_barrier
	s_and_saveexec_b64 s[22:23], s[8:9]
	s_cbranch_execz .LBB22_7
; %bb.6:                                ;   in Loop: Header=BB22_3 Depth=1
	ds_read_b64 v[0:1], v7
	ds_read_b64 v[2:3], v8
	s_waitcnt lgkmcnt(0)
	v_add_co_u32_e32 v0, vcc, v2, v0
	v_addc_co_u32_e32 v1, vcc, v3, v1, vcc
	ds_write_b64 v8, v[0:1]
.LBB22_7:                               ;   in Loop: Header=BB22_3 Depth=1
	s_or_b64 exec, exec, s[22:23]
	s_waitcnt lgkmcnt(0)
	s_barrier
	s_and_saveexec_b64 s[22:23], s[10:11]
	s_cbranch_execz .LBB22_9
; %bb.8:                                ;   in Loop: Header=BB22_3 Depth=1
	ds_read_b64 v[0:1], v9
	ds_read_b64 v[2:3], v10
	s_waitcnt lgkmcnt(0)
	v_add_co_u32_e32 v0, vcc, v2, v0
	v_addc_co_u32_e32 v1, vcc, v3, v1, vcc
	ds_write_b64 v10, v[0:1]
.LBB22_9:                               ;   in Loop: Header=BB22_3 Depth=1
	s_or_b64 exec, exec, s[22:23]
	s_waitcnt lgkmcnt(0)
	s_barrier
	s_and_saveexec_b64 s[22:23], s[12:13]
	s_cbranch_execz .LBB22_11
; %bb.10:                               ;   in Loop: Header=BB22_3 Depth=1
	ds_read_b64 v[0:1], v11
	ds_read_b64 v[2:3], v12
	s_waitcnt lgkmcnt(0)
	v_add_co_u32_e32 v0, vcc, v2, v0
	v_addc_co_u32_e32 v1, vcc, v3, v1, vcc
	ds_write_b64 v12, v[0:1]
.LBB22_11:                              ;   in Loop: Header=BB22_3 Depth=1
	s_or_b64 exec, exec, s[22:23]
	s_waitcnt lgkmcnt(0)
	s_barrier
	s_and_saveexec_b64 s[22:23], s[14:15]
	s_cbranch_execz .LBB22_13
; %bb.12:                               ;   in Loop: Header=BB22_3 Depth=1
	ds_read_b64 v[0:1], v13
	ds_read_b64 v[2:3], v14
	s_waitcnt lgkmcnt(0)
	v_add_co_u32_e32 v0, vcc, v2, v0
	v_addc_co_u32_e32 v1, vcc, v3, v1, vcc
	ds_write_b64 v14, v[0:1]
.LBB22_13:                              ;   in Loop: Header=BB22_3 Depth=1
	;; [unrolled: 13-line block ×5, first 2 shown]
	s_or_b64 exec, exec, s[22:23]
	v_add_u32_e64 v0, s27, 0
	s_waitcnt lgkmcnt(0)
	s_barrier
	s_and_saveexec_b64 s[22:23], s[0:1]
	s_cbranch_execz .LBB22_21
; %bb.20:                               ;   in Loop: Header=BB22_3 Depth=1
	ds_read2st64_b64 v[24:27], v0 offset0:3 offset1:7
	s_waitcnt lgkmcnt(0)
	v_add_co_u32_e32 v1, vcc, v26, v24
	v_addc_co_u32_e32 v2, vcc, v27, v25, vcc
	ds_write_b64 v4, v[1:2] offset:4088
.LBB22_21:                              ;   in Loop: Header=BB22_3 Depth=1
	s_or_b64 exec, exec, s[22:23]
	s_and_saveexec_b64 s[22:23], s[0:1]
; %bb.22:                               ;   in Loop: Header=BB22_3 Depth=1
	v_mov_b32_e32 v5, v4
	ds_write_b64 v4, v[4:5] offset:4088
; %bb.23:                               ;   in Loop: Header=BB22_3 Depth=1
	s_or_b64 exec, exec, s[22:23]
	s_waitcnt lgkmcnt(0)
	s_barrier
	s_and_saveexec_b64 s[22:23], s[0:1]
	s_cbranch_execz .LBB22_25
; %bb.24:                               ;   in Loop: Header=BB22_3 Depth=1
	ds_read2st64_b64 v[24:27], v0 offset0:3 offset1:7
	s_waitcnt lgkmcnt(0)
	v_add_co_u32_e32 v1, vcc, v26, v24
	v_addc_co_u32_e32 v2, vcc, v27, v25, vcc
	ds_write2st64_b64 v0, v[26:27], v[1:2] offset0:3 offset1:7
.LBB22_25:                              ;   in Loop: Header=BB22_3 Depth=1
	s_or_b64 exec, exec, s[22:23]
	s_waitcnt lgkmcnt(0)
	s_barrier
	s_and_saveexec_b64 s[22:23], s[20:21]
	s_cbranch_execz .LBB22_27
; %bb.26:                               ;   in Loop: Header=BB22_3 Depth=1
	ds_read_b64 v[0:1], v20
	ds_read_b64 v[2:3], v19
	s_waitcnt lgkmcnt(1)
	ds_write_b64 v19, v[0:1]
	s_waitcnt lgkmcnt(1)
	v_add_co_u32_e32 v0, vcc, v0, v2
	v_addc_co_u32_e32 v1, vcc, v1, v3, vcc
	ds_write_b64 v20, v[0:1]
.LBB22_27:                              ;   in Loop: Header=BB22_3 Depth=1
	s_or_b64 exec, exec, s[22:23]
	s_waitcnt lgkmcnt(0)
	s_barrier
	s_and_saveexec_b64 s[22:23], s[18:19]
	s_cbranch_execz .LBB22_29
; %bb.28:                               ;   in Loop: Header=BB22_3 Depth=1
	ds_read_b64 v[0:1], v18
	ds_read_b64 v[2:3], v17
	s_waitcnt lgkmcnt(1)
	ds_write_b64 v17, v[0:1]
	s_waitcnt lgkmcnt(1)
	v_add_co_u32_e32 v0, vcc, v0, v2
	v_addc_co_u32_e32 v1, vcc, v1, v3, vcc
	ds_write_b64 v18, v[0:1]
.LBB22_29:                              ;   in Loop: Header=BB22_3 Depth=1
	;; [unrolled: 15-line block ×7, first 2 shown]
	s_or_b64 exec, exec, s[22:23]
	s_waitcnt lgkmcnt(0)
	s_barrier
                                        ; implicit-def: $vgpr0_vgpr1
	s_and_saveexec_b64 s[22:23], s[4:5]
	s_xor_b64 s[22:23], exec, s[22:23]
; %bb.40:                               ;   in Loop: Header=BB22_3 Depth=1
	ds_read_b128 v[0:3], v6
; %bb.41:                               ;   in Loop: Header=BB22_3 Depth=1
	s_andn2_saveexec_b64 s[22:23], s[22:23]
	s_cbranch_execz .LBB22_2
; %bb.42:                               ;   in Loop: Header=BB22_3 Depth=1
	ds_read_b128 v[24:27], v6
	s_waitcnt lgkmcnt(0)
	v_add_co_u32_e32 v2, vcc, v26, v24
	v_addc_co_u32_e32 v3, vcc, v27, v25, vcc
	v_mov_b32_e32 v0, v26
	v_mov_b32_e32 v1, v27
	ds_write_b128 v6, v[0:3]
	v_mov_b32_e32 v0, v26
	v_mov_b32_e32 v1, v27
	s_branch .LBB22_2
.LBB22_43:
	s_endpgm
	.section	.rodata,"a",@progbits
	.p2align	6, 0x0
	.amdhsa_kernel _Z4scanIlLi512EEvlPT_PKS0_
		.amdhsa_group_segment_fixed_size 4096
		.amdhsa_private_segment_fixed_size 0
		.amdhsa_kernarg_size 280
		.amdhsa_user_sgpr_count 6
		.amdhsa_user_sgpr_private_segment_buffer 1
		.amdhsa_user_sgpr_dispatch_ptr 0
		.amdhsa_user_sgpr_queue_ptr 0
		.amdhsa_user_sgpr_kernarg_segment_ptr 1
		.amdhsa_user_sgpr_dispatch_id 0
		.amdhsa_user_sgpr_flat_scratch_init 0
		.amdhsa_user_sgpr_private_segment_size 0
		.amdhsa_uses_dynamic_stack 0
		.amdhsa_system_sgpr_private_segment_wavefront_offset 0
		.amdhsa_system_sgpr_workgroup_id_x 1
		.amdhsa_system_sgpr_workgroup_id_y 0
		.amdhsa_system_sgpr_workgroup_id_z 0
		.amdhsa_system_sgpr_workgroup_info 0
		.amdhsa_system_vgpr_workitem_id 0
		.amdhsa_next_free_vgpr 29
		.amdhsa_next_free_sgpr 61
		.amdhsa_reserve_vcc 1
		.amdhsa_reserve_flat_scratch 0
		.amdhsa_float_round_mode_32 0
		.amdhsa_float_round_mode_16_64 0
		.amdhsa_float_denorm_mode_32 3
		.amdhsa_float_denorm_mode_16_64 3
		.amdhsa_dx10_clamp 1
		.amdhsa_ieee_mode 1
		.amdhsa_fp16_overflow 0
		.amdhsa_exception_fp_ieee_invalid_op 0
		.amdhsa_exception_fp_denorm_src 0
		.amdhsa_exception_fp_ieee_div_zero 0
		.amdhsa_exception_fp_ieee_overflow 0
		.amdhsa_exception_fp_ieee_underflow 0
		.amdhsa_exception_fp_ieee_inexact 0
		.amdhsa_exception_int_div_zero 0
	.end_amdhsa_kernel
	.section	.text._Z4scanIlLi512EEvlPT_PKS0_,"axG",@progbits,_Z4scanIlLi512EEvlPT_PKS0_,comdat
.Lfunc_end22:
	.size	_Z4scanIlLi512EEvlPT_PKS0_, .Lfunc_end22-_Z4scanIlLi512EEvlPT_PKS0_
                                        ; -- End function
	.set _Z4scanIlLi512EEvlPT_PKS0_.num_vgpr, 28
	.set _Z4scanIlLi512EEvlPT_PKS0_.num_agpr, 0
	.set _Z4scanIlLi512EEvlPT_PKS0_.numbered_sgpr, 36
	.set _Z4scanIlLi512EEvlPT_PKS0_.num_named_barrier, 0
	.set _Z4scanIlLi512EEvlPT_PKS0_.private_seg_size, 0
	.set _Z4scanIlLi512EEvlPT_PKS0_.uses_vcc, 1
	.set _Z4scanIlLi512EEvlPT_PKS0_.uses_flat_scratch, 0
	.set _Z4scanIlLi512EEvlPT_PKS0_.has_dyn_sized_stack, 0
	.set _Z4scanIlLi512EEvlPT_PKS0_.has_recursion, 0
	.set _Z4scanIlLi512EEvlPT_PKS0_.has_indirect_call, 0
	.section	.AMDGPU.csdata,"",@progbits
; Kernel info:
; codeLenInByte = 1536
; TotalNumSgprs: 40
; NumVgprs: 28
; ScratchSize: 0
; MemoryBound: 0
; FloatMode: 240
; IeeeMode: 1
; LDSByteSize: 4096 bytes/workgroup (compile time only)
; SGPRBlocks: 8
; VGPRBlocks: 7
; NumSGPRsForWavesPerEU: 65
; NumVGPRsForWavesPerEU: 29
; Occupancy: 8
; WaveLimiterHint : 0
; COMPUTE_PGM_RSRC2:SCRATCH_EN: 0
; COMPUTE_PGM_RSRC2:USER_SGPR: 6
; COMPUTE_PGM_RSRC2:TRAP_HANDLER: 0
; COMPUTE_PGM_RSRC2:TGID_X_EN: 1
; COMPUTE_PGM_RSRC2:TGID_Y_EN: 0
; COMPUTE_PGM_RSRC2:TGID_Z_EN: 0
; COMPUTE_PGM_RSRC2:TIDIG_COMP_CNT: 0
	.section	.text._Z9scan_bcaoIlLi512EEvlPT_PKS0_,"axG",@progbits,_Z9scan_bcaoIlLi512EEvlPT_PKS0_,comdat
	.protected	_Z9scan_bcaoIlLi512EEvlPT_PKS0_ ; -- Begin function _Z9scan_bcaoIlLi512EEvlPT_PKS0_
	.globl	_Z9scan_bcaoIlLi512EEvlPT_PKS0_
	.p2align	8
	.type	_Z9scan_bcaoIlLi512EEvlPT_PKS0_,@function
_Z9scan_bcaoIlLi512EEvlPT_PKS0_:        ; @_Z9scan_bcaoIlLi512EEvlPT_PKS0_
; %bb.0:
	s_load_dwordx2 s[24:25], s[4:5], 0x0
	s_mov_b32 s7, 0
	v_mov_b32_e32 v1, s6
	v_mov_b32_e32 v2, s7
	s_waitcnt lgkmcnt(0)
	v_cmp_le_i64_e32 vcc, s[24:25], v[1:2]
	s_cbranch_vccnz .LBB23_41
; %bb.1:
	v_add_u32_e32 v1, 0x100, v0
	v_lshrrev_b32_e32 v1, 2, v1
	v_lshlrev_b32_e32 v20, 3, v0
	v_and_b32_e32 v1, 0x1f8, v1
	v_add_u32_e32 v3, v20, v1
	v_lshlrev_b32_e32 v1, 1, v0
	v_or_b32_e32 v17, 1, v1
	v_add_u32_e32 v1, 2, v1
	v_lshlrev_b32_e32 v7, 1, v17
	v_lshlrev_b32_e32 v9, 1, v1
	v_add_u32_e32 v8, -1, v7
	v_add_u32_e32 v10, -1, v9
	v_lshrrev_b32_e32 v6, 2, v10
	v_add_u32_e32 v12, v8, v7
	v_lshrrev_b32_e32 v5, 2, v8
	v_lshlrev_b32_e32 v11, 3, v10
	v_and_b32_e32 v6, 0x3ffffff8, v6
	v_lshrrev_b32_e32 v7, 2, v12
	v_lshlrev_b32_e32 v13, 4, v1
	v_and_b32_e32 v5, 0x3f8, v5
	v_add_u32_e32 v6, v11, v6
	v_add_u32_e32 v9, v10, v9
	v_and_b32_e32 v7, 0x3ffffff8, v7
	v_add_u32_e32 v10, v11, v13
	v_lshl_add_u32 v11, v17, 2, v12
	v_lshl_add_u32 v5, v8, 3, v5
	;; [unrolled: 1-line block ×3, first 2 shown]
	v_lshrrev_b32_e32 v8, 2, v9
	v_lshl_add_u32 v12, v1, 2, v9
	v_lshrrev_b32_e32 v9, 2, v11
	v_and_b32_e32 v9, 0x3ffffff8, v9
	v_lshl_add_u32 v16, v17, 3, v11
	v_and_b32_e32 v8, 0x3ffffff8, v8
	v_lshl_add_u32 v9, v11, 3, v9
	v_lshlrev_b32_e32 v15, 5, v1
	v_lshrrev_b32_e32 v11, 2, v16
	v_add_u32_e32 v8, v10, v8
	v_add_u32_e32 v14, v10, v15
	v_lshrrev_b32_e32 v10, 2, v12
	v_lshl_add_u32 v18, v1, 3, v12
	v_and_b32_e32 v11, 0x3ffffff8, v11
	v_and_b32_e32 v10, 0x3ffffff8, v10
	v_lshl_add_u32 v11, v16, 3, v11
	v_lshlrev_b32_e32 v21, 6, v1
	v_lshrrev_b32_e32 v12, 2, v18
	v_lshl_add_u32 v16, v17, 4, v16
	s_load_dwordx4 s[20:23], s[4:5], 0x8
	s_load_dword s26, s[4:5], 0x18
	v_add_u32_e32 v10, v14, v10
	v_add_u32_e32 v14, v14, v21
	v_and_b32_e32 v12, 0x3ffffff8, v12
	v_add_u32_e32 v18, v18, v13
	v_lshrrev_b32_e32 v13, 2, v16
	v_add_u32_e32 v12, v14, v12
	v_and_b32_e32 v13, 0x3ffffff8, v13
	v_lshl_add_u32 v22, v1, 7, v14
	v_lshrrev_b32_e32 v14, 2, v18
	v_add_u32_e32 v18, v18, v15
	v_lshl_add_u32 v13, v16, 3, v13
	v_lshl_add_u32 v23, v17, 5, v16
	v_lshrrev_b32_e32 v16, 2, v18
	v_add_u32_e32 v18, v18, v21
	v_lshrrev_b32_e32 v2, 2, v0
	v_lshrrev_b32_e32 v4, 1, v0
	v_and_b32_e32 v14, 0x3ffffff8, v14
	v_lshrrev_b32_e32 v18, 2, v18
	v_and_b32_e32 v2, 0xf8, v2
	s_mov_b32 s27, s7
	v_and_b32_e32 v19, 0x1f8, v4
	v_add_u32_e32 v14, v22, v14
	v_lshl_add_u32 v22, v1, 8, v22
	v_lshl_add_u32 v17, v17, 6, v23
	v_lshlrev_b32_e32 v1, 9, v1
	v_and_b32_e32 v18, 0x3ffffff8, v18
	s_lshl_b64 s[28:29], s[6:7], 12
	v_add_u32_e32 v2, v20, v2
	v_add3_u32 v4, v20, v20, v19
	v_lshrrev_b32_e32 v15, 2, v23
	v_lshrrev_b32_e32 v21, 2, v17
	v_add3_u32 v18, v22, v1, v18
	v_mov_b32_e32 v1, s29
	v_add_co_u32_e32 v20, vcc, s28, v20
	s_waitcnt lgkmcnt(0)
	s_lshl_b64 s[28:29], s[26:27], 12
	s_movk_i32 s2, 0x100
	s_movk_i32 s4, 0x80
	v_and_b32_e32 v15, 0x3ffffff8, v15
	v_and_b32_e32 v16, 0x3ffffff8, v16
	;; [unrolled: 1-line block ×3, first 2 shown]
	s_add_u32 s27, s20, 0x800
	v_cmp_eq_u32_e64 s[0:1], 0, v0
	v_cmp_gt_u32_e64 s[2:3], s2, v0
	v_cmp_gt_u32_e64 s[4:5], s4, v0
	;; [unrolled: 1-line block ×7, first 2 shown]
	v_lshl_add_u32 v15, v23, 3, v15
	v_add_u32_e32 v16, v22, v16
	v_cmp_gt_u32_e64 s[18:19], 2, v0
	v_lshl_add_u32 v17, v17, 3, v21
	v_lshl_add_u32 v19, v0, 4, v19
	v_mov_b32_e32 v0, 0
	v_addc_co_u32_e32 v21, vcc, 0, v1, vcc
	s_addc_u32 s30, s21, 0
	v_mov_b32_e32 v22, s23
	s_branch .LBB23_3
.LBB23_2:                               ;   in Loop: Header=BB23_3 Depth=1
	s_or_b64 exec, exec, s[20:21]
	s_waitcnt lgkmcnt(0)
	s_barrier
	ds_read_b64 v[23:24], v2
	ds_read_b64 v[25:26], v3 offset:2048
	v_mov_b32_e32 v1, s30
	v_add_co_u32_e32 v27, vcc, s27, v20
	v_addc_co_u32_e32 v28, vcc, v1, v21, vcc
	s_waitcnt lgkmcnt(1)
	global_store_dwordx2 v[27:28], v[23:24], off offset:-2048
	s_waitcnt lgkmcnt(0)
	global_store_dwordx2 v[27:28], v[25:26], off
	s_add_u32 s6, s6, s26
	v_mov_b32_e32 v23, s24
	s_addc_u32 s7, s7, 0
	v_mov_b32_e32 v24, s25
	v_cmp_ge_i64_e32 vcc, s[6:7], v[23:24]
	v_mov_b32_e32 v1, s29
	v_add_co_u32_e64 v20, s[20:21], s28, v20
	v_addc_co_u32_e64 v21, s[20:21], v21, v1, s[20:21]
	s_cbranch_vccnz .LBB23_41
.LBB23_3:                               ; =>This Inner Loop Header: Depth=1
	v_add_co_u32_e32 v23, vcc, s22, v20
	v_addc_co_u32_e32 v24, vcc, v22, v21, vcc
	global_load_dwordx2 v[25:26], v[23:24], off
	global_load_dwordx2 v[27:28], v[23:24], off offset:2048
	s_waitcnt vmcnt(1)
	ds_write_b64 v2, v[25:26]
	s_waitcnt vmcnt(0)
	ds_write_b64 v3, v[27:28] offset:2048
	s_waitcnt lgkmcnt(0)
	s_barrier
	s_and_saveexec_b64 s[20:21], s[2:3]
	s_cbranch_execz .LBB23_5
; %bb.4:                                ;   in Loop: Header=BB23_3 Depth=1
	ds_read2_b64 v[23:26], v4 offset1:1
	s_waitcnt lgkmcnt(0)
	v_add_co_u32_e32 v23, vcc, v25, v23
	v_addc_co_u32_e32 v24, vcc, v26, v24, vcc
	ds_write_b64 v4, v[23:24] offset:8
.LBB23_5:                               ;   in Loop: Header=BB23_3 Depth=1
	s_or_b64 exec, exec, s[20:21]
	s_waitcnt lgkmcnt(0)
	s_barrier
	s_and_saveexec_b64 s[20:21], s[4:5]
	s_cbranch_execz .LBB23_7
; %bb.6:                                ;   in Loop: Header=BB23_3 Depth=1
	ds_read_b64 v[23:24], v5
	ds_read_b64 v[25:26], v6
	s_waitcnt lgkmcnt(0)
	v_add_co_u32_e32 v23, vcc, v25, v23
	v_addc_co_u32_e32 v24, vcc, v26, v24, vcc
	ds_write_b64 v6, v[23:24]
.LBB23_7:                               ;   in Loop: Header=BB23_3 Depth=1
	s_or_b64 exec, exec, s[20:21]
	s_waitcnt lgkmcnt(0)
	s_barrier
	s_and_saveexec_b64 s[20:21], s[8:9]
	s_cbranch_execz .LBB23_9
; %bb.8:                                ;   in Loop: Header=BB23_3 Depth=1
	ds_read_b64 v[23:24], v7
	ds_read_b64 v[25:26], v8
	s_waitcnt lgkmcnt(0)
	v_add_co_u32_e32 v23, vcc, v25, v23
	v_addc_co_u32_e32 v24, vcc, v26, v24, vcc
	ds_write_b64 v8, v[23:24]
.LBB23_9:                               ;   in Loop: Header=BB23_3 Depth=1
	s_or_b64 exec, exec, s[20:21]
	s_waitcnt lgkmcnt(0)
	s_barrier
	s_and_saveexec_b64 s[20:21], s[10:11]
	s_cbranch_execz .LBB23_11
; %bb.10:                               ;   in Loop: Header=BB23_3 Depth=1
	ds_read_b64 v[23:24], v9
	ds_read_b64 v[25:26], v10
	s_waitcnt lgkmcnt(0)
	v_add_co_u32_e32 v23, vcc, v25, v23
	v_addc_co_u32_e32 v24, vcc, v26, v24, vcc
	ds_write_b64 v10, v[23:24]
.LBB23_11:                              ;   in Loop: Header=BB23_3 Depth=1
	s_or_b64 exec, exec, s[20:21]
	s_waitcnt lgkmcnt(0)
	s_barrier
	s_and_saveexec_b64 s[20:21], s[12:13]
	s_cbranch_execz .LBB23_13
; %bb.12:                               ;   in Loop: Header=BB23_3 Depth=1
	ds_read_b64 v[23:24], v11
	ds_read_b64 v[25:26], v12
	s_waitcnt lgkmcnt(0)
	v_add_co_u32_e32 v23, vcc, v25, v23
	v_addc_co_u32_e32 v24, vcc, v26, v24, vcc
	ds_write_b64 v12, v[23:24]
.LBB23_13:                              ;   in Loop: Header=BB23_3 Depth=1
	;; [unrolled: 13-line block ×5, first 2 shown]
	s_or_b64 exec, exec, s[20:21]
	s_waitcnt lgkmcnt(0)
	s_barrier
	s_and_saveexec_b64 s[20:21], s[0:1]
	s_cbranch_execz .LBB23_21
; %bb.20:                               ;   in Loop: Header=BB23_3 Depth=1
	ds_read_b64 v[23:24], v0 offset:2096
	ds_read_b64 v[25:26], v0 offset:4208
	s_waitcnt lgkmcnt(0)
	v_add_co_u32_e32 v23, vcc, v25, v23
	v_addc_co_u32_e32 v24, vcc, v26, v24, vcc
	ds_write_b64 v0, v[23:24] offset:4208
.LBB23_21:                              ;   in Loop: Header=BB23_3 Depth=1
	s_or_b64 exec, exec, s[20:21]
	s_and_saveexec_b64 s[20:21], s[0:1]
; %bb.22:                               ;   in Loop: Header=BB23_3 Depth=1
	v_mov_b32_e32 v1, v0
	ds_write_b64 v0, v[0:1] offset:4208
; %bb.23:                               ;   in Loop: Header=BB23_3 Depth=1
	s_or_b64 exec, exec, s[20:21]
	s_waitcnt lgkmcnt(0)
	s_barrier
	s_and_saveexec_b64 s[20:21], s[0:1]
	s_cbranch_execz .LBB23_25
; %bb.24:                               ;   in Loop: Header=BB23_3 Depth=1
	ds_read_b64 v[23:24], v0 offset:4208
	ds_read_b64 v[25:26], v0 offset:2096
	s_waitcnt lgkmcnt(1)
	ds_write_b64 v0, v[23:24] offset:2096
	s_waitcnt lgkmcnt(1)
	v_add_co_u32_e32 v23, vcc, v23, v25
	v_addc_co_u32_e32 v24, vcc, v24, v26, vcc
	ds_write_b64 v0, v[23:24] offset:4208
.LBB23_25:                              ;   in Loop: Header=BB23_3 Depth=1
	s_or_b64 exec, exec, s[20:21]
	s_waitcnt lgkmcnt(0)
	s_barrier
	s_and_saveexec_b64 s[20:21], s[18:19]
	s_cbranch_execz .LBB23_27
; %bb.26:                               ;   in Loop: Header=BB23_3 Depth=1
	ds_read_b64 v[23:24], v18
	ds_read_b64 v[25:26], v17
	s_waitcnt lgkmcnt(1)
	ds_write_b64 v17, v[23:24]
	s_waitcnt lgkmcnt(1)
	v_add_co_u32_e32 v23, vcc, v23, v25
	v_addc_co_u32_e32 v24, vcc, v24, v26, vcc
	ds_write_b64 v18, v[23:24]
.LBB23_27:                              ;   in Loop: Header=BB23_3 Depth=1
	s_or_b64 exec, exec, s[20:21]
	s_waitcnt lgkmcnt(0)
	s_barrier
	s_and_saveexec_b64 s[20:21], s[16:17]
	s_cbranch_execz .LBB23_29
; %bb.28:                               ;   in Loop: Header=BB23_3 Depth=1
	ds_read_b64 v[23:24], v16
	ds_read_b64 v[25:26], v15
	s_waitcnt lgkmcnt(1)
	ds_write_b64 v15, v[23:24]
	s_waitcnt lgkmcnt(1)
	v_add_co_u32_e32 v23, vcc, v23, v25
	v_addc_co_u32_e32 v24, vcc, v24, v26, vcc
	ds_write_b64 v16, v[23:24]
.LBB23_29:                              ;   in Loop: Header=BB23_3 Depth=1
	;; [unrolled: 15-line block ×7, first 2 shown]
	s_or_b64 exec, exec, s[20:21]
	s_waitcnt lgkmcnt(0)
	s_barrier
	s_and_saveexec_b64 s[20:21], s[2:3]
	s_cbranch_execz .LBB23_2
; %bb.40:                               ;   in Loop: Header=BB23_3 Depth=1
	ds_read2_b64 v[23:26], v19 offset1:1
	s_waitcnt lgkmcnt(0)
	v_add_co_u32_e32 v23, vcc, v25, v23
	v_addc_co_u32_e32 v24, vcc, v26, v24, vcc
	ds_write2_b64 v19, v[25:26], v[23:24] offset1:1
	s_branch .LBB23_2
.LBB23_41:
	s_endpgm
	.section	.rodata,"a",@progbits
	.p2align	6, 0x0
	.amdhsa_kernel _Z9scan_bcaoIlLi512EEvlPT_PKS0_
		.amdhsa_group_segment_fixed_size 8192
		.amdhsa_private_segment_fixed_size 0
		.amdhsa_kernarg_size 280
		.amdhsa_user_sgpr_count 6
		.amdhsa_user_sgpr_private_segment_buffer 1
		.amdhsa_user_sgpr_dispatch_ptr 0
		.amdhsa_user_sgpr_queue_ptr 0
		.amdhsa_user_sgpr_kernarg_segment_ptr 1
		.amdhsa_user_sgpr_dispatch_id 0
		.amdhsa_user_sgpr_flat_scratch_init 0
		.amdhsa_user_sgpr_private_segment_size 0
		.amdhsa_uses_dynamic_stack 0
		.amdhsa_system_sgpr_private_segment_wavefront_offset 0
		.amdhsa_system_sgpr_workgroup_id_x 1
		.amdhsa_system_sgpr_workgroup_id_y 0
		.amdhsa_system_sgpr_workgroup_id_z 0
		.amdhsa_system_sgpr_workgroup_info 0
		.amdhsa_system_vgpr_workitem_id 0
		.amdhsa_next_free_vgpr 29
		.amdhsa_next_free_sgpr 61
		.amdhsa_reserve_vcc 1
		.amdhsa_reserve_flat_scratch 0
		.amdhsa_float_round_mode_32 0
		.amdhsa_float_round_mode_16_64 0
		.amdhsa_float_denorm_mode_32 3
		.amdhsa_float_denorm_mode_16_64 3
		.amdhsa_dx10_clamp 1
		.amdhsa_ieee_mode 1
		.amdhsa_fp16_overflow 0
		.amdhsa_exception_fp_ieee_invalid_op 0
		.amdhsa_exception_fp_denorm_src 0
		.amdhsa_exception_fp_ieee_div_zero 0
		.amdhsa_exception_fp_ieee_overflow 0
		.amdhsa_exception_fp_ieee_underflow 0
		.amdhsa_exception_fp_ieee_inexact 0
		.amdhsa_exception_int_div_zero 0
	.end_amdhsa_kernel
	.section	.text._Z9scan_bcaoIlLi512EEvlPT_PKS0_,"axG",@progbits,_Z9scan_bcaoIlLi512EEvlPT_PKS0_,comdat
.Lfunc_end23:
	.size	_Z9scan_bcaoIlLi512EEvlPT_PKS0_, .Lfunc_end23-_Z9scan_bcaoIlLi512EEvlPT_PKS0_
                                        ; -- End function
	.set _Z9scan_bcaoIlLi512EEvlPT_PKS0_.num_vgpr, 29
	.set _Z9scan_bcaoIlLi512EEvlPT_PKS0_.num_agpr, 0
	.set _Z9scan_bcaoIlLi512EEvlPT_PKS0_.numbered_sgpr, 31
	.set _Z9scan_bcaoIlLi512EEvlPT_PKS0_.num_named_barrier, 0
	.set _Z9scan_bcaoIlLi512EEvlPT_PKS0_.private_seg_size, 0
	.set _Z9scan_bcaoIlLi512EEvlPT_PKS0_.uses_vcc, 1
	.set _Z9scan_bcaoIlLi512EEvlPT_PKS0_.uses_flat_scratch, 0
	.set _Z9scan_bcaoIlLi512EEvlPT_PKS0_.has_dyn_sized_stack, 0
	.set _Z9scan_bcaoIlLi512EEvlPT_PKS0_.has_recursion, 0
	.set _Z9scan_bcaoIlLi512EEvlPT_PKS0_.has_indirect_call, 0
	.section	.AMDGPU.csdata,"",@progbits
; Kernel info:
; codeLenInByte = 1928
; TotalNumSgprs: 35
; NumVgprs: 29
; ScratchSize: 0
; MemoryBound: 0
; FloatMode: 240
; IeeeMode: 1
; LDSByteSize: 8192 bytes/workgroup (compile time only)
; SGPRBlocks: 8
; VGPRBlocks: 7
; NumSGPRsForWavesPerEU: 65
; NumVGPRsForWavesPerEU: 29
; Occupancy: 8
; WaveLimiterHint : 1
; COMPUTE_PGM_RSRC2:SCRATCH_EN: 0
; COMPUTE_PGM_RSRC2:USER_SGPR: 6
; COMPUTE_PGM_RSRC2:TRAP_HANDLER: 0
; COMPUTE_PGM_RSRC2:TGID_X_EN: 1
; COMPUTE_PGM_RSRC2:TGID_Y_EN: 0
; COMPUTE_PGM_RSRC2:TGID_Z_EN: 0
; COMPUTE_PGM_RSRC2:TIDIG_COMP_CNT: 0
	.section	.text._Z4scanIcLi1024EEvlPT_PKS0_,"axG",@progbits,_Z4scanIcLi1024EEvlPT_PKS0_,comdat
	.protected	_Z4scanIcLi1024EEvlPT_PKS0_ ; -- Begin function _Z4scanIcLi1024EEvlPT_PKS0_
	.globl	_Z4scanIcLi1024EEvlPT_PKS0_
	.p2align	8
	.type	_Z4scanIcLi1024EEvlPT_PKS0_,@function
_Z4scanIcLi1024EEvlPT_PKS0_:            ; @_Z4scanIcLi1024EEvlPT_PKS0_
; %bb.0:
	s_load_dwordx2 s[28:29], s[4:5], 0x0
	s_mov_b32 s7, 0
	v_mov_b32_e32 v1, s6
	v_mov_b32_e32 v2, s7
	s_waitcnt lgkmcnt(0)
	v_cmp_le_i64_e32 vcc, s[28:29], v[1:2]
	s_cbranch_vccnz .LBB24_47
; %bb.1:
	v_lshlrev_b32_e32 v1, 1, v0
	v_or_b32_e32 v17, 1, v1
	v_add_u32_e32 v18, 2, v1
	v_lshlrev_b32_e32 v5, 1, v17
	v_lshlrev_b32_e32 v6, 1, v18
	v_add_u32_e32 v3, -1, v5
	v_add_u32_e32 v4, -1, v6
	v_add_u32_e32 v5, v3, v5
	v_add_u32_e32 v6, v4, v6
	s_load_dwordx4 s[24:27], s[4:5], 0x8
	s_load_dword s30, s[4:5], 0x18
	v_lshl_add_u32 v7, v17, 2, v5
	v_lshl_add_u32 v8, v18, 2, v6
	;; [unrolled: 1-line block ×8, first 2 shown]
	s_mov_b32 s31, s7
	s_movk_i32 s2, 0x200
	s_movk_i32 s4, 0x1ff
	;; [unrolled: 1-line block ×4, first 2 shown]
	v_lshl_add_u32 v15, v17, 6, v13
	v_lshl_add_u32 v16, v18, 6, v14
	s_lshl_b64 s[34:35], s[6:7], 10
	v_cmp_eq_u32_e64 s[0:1], 0, v0
	v_cmp_gt_u32_e64 s[2:3], s2, v0
	v_cmp_lt_u32_e64 s[4:5], s4, v0
	v_cmp_gt_u32_e64 s[8:9], s8, v0
	v_cmp_gt_u32_e64 s[10:11], s10, v0
	v_cmp_gt_u32_e64 s[12:13], 64, v0
	v_cmp_gt_u32_e64 s[14:15], 32, v0
	v_cmp_gt_u32_e64 s[16:17], 16, v0
	v_cmp_gt_u32_e64 s[18:19], 8, v0
	v_cmp_gt_u32_e64 s[20:21], 4, v0
	v_cmp_gt_u32_e64 s[22:23], 2, v0
	v_lshl_add_u32 v0, v17, 7, v15
	v_lshl_add_u32 v17, v18, 7, v16
	v_mov_b32_e32 v19, s35
	v_add_co_u32_e32 v18, vcc, s34, v1
	s_waitcnt lgkmcnt(0)
	s_lshl_b64 s[34:35], s[30:31], 10
	s_add_u32 s31, s24, 1
	v_mov_b32_e32 v2, 0
	v_addc_co_u32_e32 v19, vcc, 0, v19, vcc
	s_addc_u32 s33, s25, 0
	v_mov_b32_e32 v20, s27
	s_branch .LBB24_3
.LBB24_2:                               ;   in Loop: Header=BB24_3 Depth=1
	s_or_b64 exec, exec, s[24:25]
	v_mov_b32_e32 v24, s33
	v_add_co_u32_e32 v23, vcc, s31, v18
	v_lshlrev_b16_e32 v22, 8, v22
	v_addc_co_u32_e32 v24, vcc, v24, v19, vcc
	v_or_b32_sdwa v21, v21, v22 dst_sel:DWORD dst_unused:UNUSED_PAD src0_sel:BYTE_0 src1_sel:DWORD
	global_store_short v[23:24], v21, off offset:-1
	s_add_u32 s6, s6, s30
	v_mov_b32_e32 v21, s28
	s_addc_u32 s7, s7, 0
	v_mov_b32_e32 v22, s29
	v_cmp_ge_i64_e32 vcc, s[6:7], v[21:22]
	v_mov_b32_e32 v23, s35
	v_add_co_u32_e64 v18, s[24:25], s34, v18
	v_addc_co_u32_e64 v19, s[24:25], v19, v23, s[24:25]
	s_cbranch_vccnz .LBB24_47
.LBB24_3:                               ; =>This Inner Loop Header: Depth=1
	v_add_co_u32_e32 v21, vcc, s26, v18
	v_addc_co_u32_e32 v22, vcc, v20, v19, vcc
	global_load_ushort v21, v[21:22], off
	s_waitcnt vmcnt(0)
	ds_write_b16 v1, v21
	s_waitcnt lgkmcnt(0)
	s_barrier
	s_and_saveexec_b64 s[24:25], s[2:3]
	s_cbranch_execz .LBB24_5
; %bb.4:                                ;   in Loop: Header=BB24_3 Depth=1
	ds_read_u16 v21, v1
	s_waitcnt lgkmcnt(0)
	v_add_u16_sdwa v21, v21, v21 dst_sel:DWORD dst_unused:UNUSED_PAD src0_sel:BYTE_1 src1_sel:DWORD
	ds_write_b8 v1, v21 offset:1
.LBB24_5:                               ;   in Loop: Header=BB24_3 Depth=1
	s_or_b64 exec, exec, s[24:25]
	s_waitcnt lgkmcnt(0)
	s_barrier
	s_and_saveexec_b64 s[24:25], s[8:9]
	s_cbranch_execz .LBB24_7
; %bb.6:                                ;   in Loop: Header=BB24_3 Depth=1
	ds_read_u8 v21, v3
	ds_read_u8 v22, v4
	s_waitcnt lgkmcnt(0)
	v_add_u16_e32 v21, v22, v21
	ds_write_b8 v4, v21
.LBB24_7:                               ;   in Loop: Header=BB24_3 Depth=1
	s_or_b64 exec, exec, s[24:25]
	s_waitcnt lgkmcnt(0)
	s_barrier
	s_and_saveexec_b64 s[24:25], s[10:11]
	s_cbranch_execz .LBB24_9
; %bb.8:                                ;   in Loop: Header=BB24_3 Depth=1
	ds_read_u8 v21, v5
	ds_read_u8 v22, v6
	s_waitcnt lgkmcnt(0)
	v_add_u16_e32 v21, v22, v21
	ds_write_b8 v6, v21
.LBB24_9:                               ;   in Loop: Header=BB24_3 Depth=1
	s_or_b64 exec, exec, s[24:25]
	s_waitcnt lgkmcnt(0)
	s_barrier
	s_and_saveexec_b64 s[24:25], s[12:13]
	s_cbranch_execz .LBB24_11
; %bb.10:                               ;   in Loop: Header=BB24_3 Depth=1
	ds_read_u8 v21, v7
	ds_read_u8 v22, v8
	s_waitcnt lgkmcnt(0)
	v_add_u16_e32 v21, v22, v21
	ds_write_b8 v8, v21
.LBB24_11:                              ;   in Loop: Header=BB24_3 Depth=1
	s_or_b64 exec, exec, s[24:25]
	s_waitcnt lgkmcnt(0)
	s_barrier
	s_and_saveexec_b64 s[24:25], s[14:15]
	s_cbranch_execz .LBB24_13
; %bb.12:                               ;   in Loop: Header=BB24_3 Depth=1
	ds_read_u8 v21, v9
	ds_read_u8 v22, v10
	s_waitcnt lgkmcnt(0)
	v_add_u16_e32 v21, v22, v21
	ds_write_b8 v10, v21
.LBB24_13:                              ;   in Loop: Header=BB24_3 Depth=1
	;; [unrolled: 12-line block ×6, first 2 shown]
	s_or_b64 exec, exec, s[24:25]
	s_waitcnt lgkmcnt(0)
	s_barrier
	s_and_saveexec_b64 s[24:25], s[0:1]
	s_cbranch_execz .LBB24_23
; %bb.22:                               ;   in Loop: Header=BB24_3 Depth=1
	ds_read_u8 v21, v2 offset:511
	ds_read_u8 v22, v2 offset:1023
	s_waitcnt lgkmcnt(0)
	v_add_u32_e32 v21, v22, v21
	ds_write_b8 v2, v21 offset:1023
.LBB24_23:                              ;   in Loop: Header=BB24_3 Depth=1
	s_or_b64 exec, exec, s[24:25]
	s_and_saveexec_b64 s[24:25], s[0:1]
; %bb.24:                               ;   in Loop: Header=BB24_3 Depth=1
	ds_write_b8 v2, v2 offset:1023
; %bb.25:                               ;   in Loop: Header=BB24_3 Depth=1
	s_or_b64 exec, exec, s[24:25]
	s_waitcnt lgkmcnt(0)
	s_barrier
	s_and_saveexec_b64 s[24:25], s[0:1]
	s_cbranch_execz .LBB24_27
; %bb.26:                               ;   in Loop: Header=BB24_3 Depth=1
	ds_read_u8 v21, v2 offset:1023
	ds_read_u8 v22, v2 offset:511
	s_waitcnt lgkmcnt(1)
	ds_write_b8 v2, v21 offset:511
	s_waitcnt lgkmcnt(1)
	v_add_u32_e32 v21, v21, v22
	ds_write_b8 v2, v21 offset:1023
.LBB24_27:                              ;   in Loop: Header=BB24_3 Depth=1
	s_or_b64 exec, exec, s[24:25]
	s_waitcnt lgkmcnt(0)
	s_barrier
	s_and_saveexec_b64 s[24:25], s[22:23]
	s_cbranch_execz .LBB24_29
; %bb.28:                               ;   in Loop: Header=BB24_3 Depth=1
	ds_read_u8 v21, v17
	ds_read_u8 v22, v0
	s_waitcnt lgkmcnt(1)
	ds_write_b8 v0, v21
	s_waitcnt lgkmcnt(1)
	v_add_u16_e32 v21, v21, v22
	ds_write_b8 v17, v21
.LBB24_29:                              ;   in Loop: Header=BB24_3 Depth=1
	s_or_b64 exec, exec, s[24:25]
	s_waitcnt lgkmcnt(0)
	s_barrier
	s_and_saveexec_b64 s[24:25], s[20:21]
	s_cbranch_execz .LBB24_31
; %bb.30:                               ;   in Loop: Header=BB24_3 Depth=1
	ds_read_u8 v21, v16
	ds_read_u8 v22, v15
	s_waitcnt lgkmcnt(1)
	ds_write_b8 v15, v21
	s_waitcnt lgkmcnt(1)
	v_add_u16_e32 v21, v21, v22
	ds_write_b8 v16, v21
.LBB24_31:                              ;   in Loop: Header=BB24_3 Depth=1
	;; [unrolled: 14-line block ×8, first 2 shown]
	s_or_b64 exec, exec, s[24:25]
	s_waitcnt lgkmcnt(0)
	s_barrier
                                        ; implicit-def: $vgpr21
                                        ; implicit-def: $vgpr22
	s_and_saveexec_b64 s[24:25], s[4:5]
	s_xor_b64 s[24:25], exec, s[24:25]
	s_cbranch_execz .LBB24_45
; %bb.44:                               ;   in Loop: Header=BB24_3 Depth=1
	ds_read_u16 v21, v1
	s_waitcnt lgkmcnt(0)
	v_lshrrev_b16_e32 v22, 8, v21
.LBB24_45:                              ;   in Loop: Header=BB24_3 Depth=1
	s_andn2_saveexec_b64 s[24:25], s[24:25]
	s_cbranch_execz .LBB24_2
; %bb.46:                               ;   in Loop: Header=BB24_3 Depth=1
	ds_read_u16 v22, v1
	s_waitcnt lgkmcnt(0)
	v_lshrrev_b16_e32 v21, 8, v22
	v_add_u16_e32 v22, v21, v22
	v_lshlrev_b16_e32 v23, 8, v22
	v_or_b32_e32 v23, v21, v23
	ds_write_b16 v1, v23
	s_branch .LBB24_2
.LBB24_47:
	s_endpgm
	.section	.rodata,"a",@progbits
	.p2align	6, 0x0
	.amdhsa_kernel _Z4scanIcLi1024EEvlPT_PKS0_
		.amdhsa_group_segment_fixed_size 1024
		.amdhsa_private_segment_fixed_size 0
		.amdhsa_kernarg_size 280
		.amdhsa_user_sgpr_count 6
		.amdhsa_user_sgpr_private_segment_buffer 1
		.amdhsa_user_sgpr_dispatch_ptr 0
		.amdhsa_user_sgpr_queue_ptr 0
		.amdhsa_user_sgpr_kernarg_segment_ptr 1
		.amdhsa_user_sgpr_dispatch_id 0
		.amdhsa_user_sgpr_flat_scratch_init 0
		.amdhsa_user_sgpr_private_segment_size 0
		.amdhsa_uses_dynamic_stack 0
		.amdhsa_system_sgpr_private_segment_wavefront_offset 0
		.amdhsa_system_sgpr_workgroup_id_x 1
		.amdhsa_system_sgpr_workgroup_id_y 0
		.amdhsa_system_sgpr_workgroup_id_z 0
		.amdhsa_system_sgpr_workgroup_info 0
		.amdhsa_system_vgpr_workitem_id 0
		.amdhsa_next_free_vgpr 25
		.amdhsa_next_free_sgpr 36
		.amdhsa_reserve_vcc 1
		.amdhsa_reserve_flat_scratch 0
		.amdhsa_float_round_mode_32 0
		.amdhsa_float_round_mode_16_64 0
		.amdhsa_float_denorm_mode_32 3
		.amdhsa_float_denorm_mode_16_64 3
		.amdhsa_dx10_clamp 1
		.amdhsa_ieee_mode 1
		.amdhsa_fp16_overflow 0
		.amdhsa_exception_fp_ieee_invalid_op 0
		.amdhsa_exception_fp_denorm_src 0
		.amdhsa_exception_fp_ieee_div_zero 0
		.amdhsa_exception_fp_ieee_overflow 0
		.amdhsa_exception_fp_ieee_underflow 0
		.amdhsa_exception_fp_ieee_inexact 0
		.amdhsa_exception_int_div_zero 0
	.end_amdhsa_kernel
	.section	.text._Z4scanIcLi1024EEvlPT_PKS0_,"axG",@progbits,_Z4scanIcLi1024EEvlPT_PKS0_,comdat
.Lfunc_end24:
	.size	_Z4scanIcLi1024EEvlPT_PKS0_, .Lfunc_end24-_Z4scanIcLi1024EEvlPT_PKS0_
                                        ; -- End function
	.set _Z4scanIcLi1024EEvlPT_PKS0_.num_vgpr, 25
	.set _Z4scanIcLi1024EEvlPT_PKS0_.num_agpr, 0
	.set _Z4scanIcLi1024EEvlPT_PKS0_.numbered_sgpr, 36
	.set _Z4scanIcLi1024EEvlPT_PKS0_.num_named_barrier, 0
	.set _Z4scanIcLi1024EEvlPT_PKS0_.private_seg_size, 0
	.set _Z4scanIcLi1024EEvlPT_PKS0_.uses_vcc, 1
	.set _Z4scanIcLi1024EEvlPT_PKS0_.uses_flat_scratch, 0
	.set _Z4scanIcLi1024EEvlPT_PKS0_.has_dyn_sized_stack, 0
	.set _Z4scanIcLi1024EEvlPT_PKS0_.has_recursion, 0
	.set _Z4scanIcLi1024EEvlPT_PKS0_.has_indirect_call, 0
	.section	.AMDGPU.csdata,"",@progbits
; Kernel info:
; codeLenInByte = 1636
; TotalNumSgprs: 40
; NumVgprs: 25
; ScratchSize: 0
; MemoryBound: 0
; FloatMode: 240
; IeeeMode: 1
; LDSByteSize: 1024 bytes/workgroup (compile time only)
; SGPRBlocks: 4
; VGPRBlocks: 6
; NumSGPRsForWavesPerEU: 40
; NumVGPRsForWavesPerEU: 25
; Occupancy: 9
; WaveLimiterHint : 0
; COMPUTE_PGM_RSRC2:SCRATCH_EN: 0
; COMPUTE_PGM_RSRC2:USER_SGPR: 6
; COMPUTE_PGM_RSRC2:TRAP_HANDLER: 0
; COMPUTE_PGM_RSRC2:TGID_X_EN: 1
; COMPUTE_PGM_RSRC2:TGID_Y_EN: 0
; COMPUTE_PGM_RSRC2:TGID_Z_EN: 0
; COMPUTE_PGM_RSRC2:TIDIG_COMP_CNT: 0
	.section	.text._Z9scan_bcaoIcLi1024EEvlPT_PKS0_,"axG",@progbits,_Z9scan_bcaoIcLi1024EEvlPT_PKS0_,comdat
	.protected	_Z9scan_bcaoIcLi1024EEvlPT_PKS0_ ; -- Begin function _Z9scan_bcaoIcLi1024EEvlPT_PKS0_
	.globl	_Z9scan_bcaoIcLi1024EEvlPT_PKS0_
	.p2align	8
	.type	_Z9scan_bcaoIcLi1024EEvlPT_PKS0_,@function
_Z9scan_bcaoIcLi1024EEvlPT_PKS0_:       ; @_Z9scan_bcaoIcLi1024EEvlPT_PKS0_
; %bb.0:
	s_load_dwordx2 s[28:29], s[4:5], 0x0
	s_mov_b32 s7, 0
	v_mov_b32_e32 v1, s6
	v_mov_b32_e32 v2, s7
	s_waitcnt lgkmcnt(0)
	v_cmp_le_i64_e32 vcc, s[28:29], v[1:2]
	s_cbranch_vccnz .LBB25_45
; %bb.1:
	v_add_u32_e32 v1, 0x200, v0
	v_lshrrev_b32_e32 v14, 5, v1
	v_lshlrev_b32_e32 v1, 1, v0
	v_or_b32_e32 v11, 1, v1
	v_add_u32_e32 v12, 2, v1
	v_lshlrev_b32_e32 v3, 1, v11
	v_lshlrev_b32_e32 v5, 1, v12
	v_add_u32_e32 v4, -1, v3
	v_add_u32_e32 v6, -1, v5
	v_add_u32_e32 v9, v4, v3
	v_add_u32_e32 v10, v6, v5
	s_load_dwordx4 s[24:27], s[4:5], 0x8
	s_load_dword s30, s[4:5], 0x18
	v_lshl_add_u32 v16, v11, 2, v9
	v_lshl_add_u32 v18, v12, 2, v10
	;; [unrolled: 1-line block ×8, first 2 shown]
	s_mov_b32 s31, s7
	v_lshrrev_b32_e32 v7, 5, v4
	v_lshrrev_b32_e32 v8, 5, v6
	;; [unrolled: 1-line block ×6, first 2 shown]
	v_lshl_add_u32 v33, v11, 6, v29
	v_lshl_add_u32 v34, v12, 6, v30
	v_lshrrev_b32_e32 v20, 5, v18
	v_lshrrev_b32_e32 v27, 5, v25
	v_add_u32_e32 v3, v4, v7
	v_add_u32_e32 v4, v6, v8
	;; [unrolled: 1-line block ×6, first 2 shown]
	v_lshl_add_u32 v22, v11, 7, v33
	v_lshl_add_u32 v23, v12, 7, v34
	s_lshl_b64 s[22:23], s[6:7], 10
	s_waitcnt lgkmcnt(0)
	s_lshl_b64 s[34:35], s[30:31], 10
	s_movk_i32 s2, 0x200
	v_lshrrev_b32_e32 v13, 5, v0
	v_lshrrev_b32_e32 v2, 4, v0
	v_add_u32_e32 v17, v0, v0
	s_movk_i32 s4, 0x100
	s_movk_i32 s8, 0x80
	v_lshrrev_b32_e32 v19, 5, v16
	v_lshrrev_b32_e32 v28, 5, v26
	;; [unrolled: 1-line block ×4, first 2 shown]
	v_add_u32_e32 v8, v18, v20
	v_lshrrev_b32_e32 v20, 5, v33
	v_lshrrev_b32_e32 v21, 5, v34
	v_add_u32_e32 v11, v25, v27
	v_lshrrev_b32_e32 v24, 5, v22
	v_lshrrev_b32_e32 v25, 5, v23
	s_add_u32 s24, s24, 0x200
	v_cmp_eq_u32_e64 s[0:1], 0, v0
	v_cmp_gt_u32_e64 s[2:3], s2, v0
	v_cmp_gt_u32_e64 s[4:5], s4, v0
	;; [unrolled: 1-line block ×8, first 2 shown]
	v_add_u32_e32 v7, v16, v19
	v_cmp_gt_u32_e64 s[20:21], 2, v0
	v_add_u32_e32 v12, v26, v28
	v_add_u32_e32 v13, v0, v13
	;; [unrolled: 1-line block ×3, first 2 shown]
	v_or_b32_e32 v0, s22, v0
	v_add_u32_e32 v15, v29, v31
	v_mov_b32_e32 v16, s23
	s_addc_u32 s25, s25, 0
	v_add_u32_e32 v17, v17, v2
	v_add_u32_e32 v18, v30, v32
	v_mov_b32_e32 v19, 0
	v_add_u32_e32 v20, v33, v20
	v_add_u32_e32 v21, v34, v21
	;; [unrolled: 1-line block ×4, first 2 shown]
	s_branch .LBB25_3
.LBB25_2:                               ;   in Loop: Header=BB25_3 Depth=1
	s_or_b64 exec, exec, s[22:23]
	s_waitcnt lgkmcnt(0)
	s_barrier
	ds_read_u8 v26, v13
	ds_read_u8 v27, v14 offset:512
	v_mov_b32_e32 v25, s25
	v_add_co_u32_e32 v24, vcc, s24, v0
	v_addc_co_u32_e32 v25, vcc, v25, v16, vcc
	s_waitcnt lgkmcnt(1)
	global_store_byte v[24:25], v26, off offset:-512
	s_waitcnt lgkmcnt(0)
	global_store_byte v[24:25], v27, off
	s_add_u32 s6, s6, s30
	v_mov_b32_e32 v24, s28
	s_addc_u32 s7, s7, 0
	v_mov_b32_e32 v25, s29
	v_cmp_ge_i64_e32 vcc, s[6:7], v[24:25]
	v_mov_b32_e32 v26, s35
	v_add_co_u32_e64 v0, s[22:23], s34, v0
	v_addc_co_u32_e64 v16, s[22:23], v16, v26, s[22:23]
	s_cbranch_vccnz .LBB25_45
.LBB25_3:                               ; =>This Inner Loop Header: Depth=1
	v_mov_b32_e32 v25, s27
	v_add_co_u32_e32 v24, vcc, s26, v0
	v_addc_co_u32_e32 v25, vcc, v25, v16, vcc
	global_load_ubyte v26, v[24:25], off
	global_load_ubyte v27, v[24:25], off offset:512
	s_waitcnt vmcnt(1)
	ds_write_b8 v13, v26
	s_waitcnt vmcnt(0)
	ds_write_b8 v14, v27 offset:512
	s_waitcnt lgkmcnt(0)
	s_barrier
	s_and_saveexec_b64 s[22:23], s[2:3]
	s_cbranch_execz .LBB25_5
; %bb.4:                                ;   in Loop: Header=BB25_3 Depth=1
	ds_read_u8 v24, v17
	ds_read_u8 v25, v17 offset:1
	s_waitcnt lgkmcnt(0)
	v_add_u16_e32 v24, v25, v24
	ds_write_b8 v17, v24 offset:1
.LBB25_5:                               ;   in Loop: Header=BB25_3 Depth=1
	s_or_b64 exec, exec, s[22:23]
	s_waitcnt lgkmcnt(0)
	s_barrier
	s_and_saveexec_b64 s[22:23], s[4:5]
	s_cbranch_execz .LBB25_7
; %bb.6:                                ;   in Loop: Header=BB25_3 Depth=1
	ds_read_u8 v24, v3
	ds_read_u8 v25, v4
	s_waitcnt lgkmcnt(0)
	v_add_u16_e32 v24, v25, v24
	ds_write_b8 v4, v24
.LBB25_7:                               ;   in Loop: Header=BB25_3 Depth=1
	s_or_b64 exec, exec, s[22:23]
	s_waitcnt lgkmcnt(0)
	s_barrier
	s_and_saveexec_b64 s[22:23], s[8:9]
	s_cbranch_execz .LBB25_9
; %bb.8:                                ;   in Loop: Header=BB25_3 Depth=1
	ds_read_u8 v24, v5
	ds_read_u8 v25, v6
	s_waitcnt lgkmcnt(0)
	v_add_u16_e32 v24, v25, v24
	ds_write_b8 v6, v24
.LBB25_9:                               ;   in Loop: Header=BB25_3 Depth=1
	s_or_b64 exec, exec, s[22:23]
	s_waitcnt lgkmcnt(0)
	s_barrier
	s_and_saveexec_b64 s[22:23], s[10:11]
	s_cbranch_execz .LBB25_11
; %bb.10:                               ;   in Loop: Header=BB25_3 Depth=1
	ds_read_u8 v24, v7
	ds_read_u8 v25, v8
	s_waitcnt lgkmcnt(0)
	v_add_u16_e32 v24, v25, v24
	ds_write_b8 v8, v24
.LBB25_11:                              ;   in Loop: Header=BB25_3 Depth=1
	s_or_b64 exec, exec, s[22:23]
	s_waitcnt lgkmcnt(0)
	s_barrier
	s_and_saveexec_b64 s[22:23], s[12:13]
	s_cbranch_execz .LBB25_13
; %bb.12:                               ;   in Loop: Header=BB25_3 Depth=1
	ds_read_u8 v24, v9
	ds_read_u8 v25, v10
	s_waitcnt lgkmcnt(0)
	v_add_u16_e32 v24, v25, v24
	ds_write_b8 v10, v24
.LBB25_13:                              ;   in Loop: Header=BB25_3 Depth=1
	;; [unrolled: 12-line block ×6, first 2 shown]
	s_or_b64 exec, exec, s[22:23]
	s_waitcnt lgkmcnt(0)
	s_barrier
	s_and_saveexec_b64 s[22:23], s[0:1]
	s_cbranch_execz .LBB25_23
; %bb.22:                               ;   in Loop: Header=BB25_3 Depth=1
	ds_read_u8 v24, v19 offset:526
	ds_read_u8 v25, v19 offset:1054
	s_waitcnt lgkmcnt(0)
	v_add_u32_e32 v24, v25, v24
	ds_write_b8 v19, v24 offset:1054
.LBB25_23:                              ;   in Loop: Header=BB25_3 Depth=1
	s_or_b64 exec, exec, s[22:23]
	s_and_saveexec_b64 s[22:23], s[0:1]
; %bb.24:                               ;   in Loop: Header=BB25_3 Depth=1
	ds_write_b8 v19, v19 offset:1054
; %bb.25:                               ;   in Loop: Header=BB25_3 Depth=1
	s_or_b64 exec, exec, s[22:23]
	s_waitcnt lgkmcnt(0)
	s_barrier
	s_and_saveexec_b64 s[22:23], s[0:1]
	s_cbranch_execz .LBB25_27
; %bb.26:                               ;   in Loop: Header=BB25_3 Depth=1
	ds_read_u8 v24, v19 offset:1054
	ds_read_u8 v25, v19 offset:526
	s_waitcnt lgkmcnt(1)
	ds_write_b8 v19, v24 offset:526
	s_waitcnt lgkmcnt(1)
	v_add_u32_e32 v24, v24, v25
	ds_write_b8 v19, v24 offset:1054
.LBB25_27:                              ;   in Loop: Header=BB25_3 Depth=1
	s_or_b64 exec, exec, s[22:23]
	s_waitcnt lgkmcnt(0)
	s_barrier
	s_and_saveexec_b64 s[22:23], s[20:21]
	s_cbranch_execz .LBB25_29
; %bb.28:                               ;   in Loop: Header=BB25_3 Depth=1
	ds_read_u8 v24, v23
	ds_read_u8 v25, v22
	s_waitcnt lgkmcnt(1)
	ds_write_b8 v22, v24
	s_waitcnt lgkmcnt(1)
	v_add_u16_e32 v24, v24, v25
	ds_write_b8 v23, v24
.LBB25_29:                              ;   in Loop: Header=BB25_3 Depth=1
	s_or_b64 exec, exec, s[22:23]
	s_waitcnt lgkmcnt(0)
	s_barrier
	s_and_saveexec_b64 s[22:23], s[18:19]
	s_cbranch_execz .LBB25_31
; %bb.30:                               ;   in Loop: Header=BB25_3 Depth=1
	ds_read_u8 v24, v21
	ds_read_u8 v25, v20
	s_waitcnt lgkmcnt(1)
	ds_write_b8 v20, v24
	s_waitcnt lgkmcnt(1)
	v_add_u16_e32 v24, v24, v25
	ds_write_b8 v21, v24
.LBB25_31:                              ;   in Loop: Header=BB25_3 Depth=1
	;; [unrolled: 14-line block ×8, first 2 shown]
	s_or_b64 exec, exec, s[22:23]
	s_waitcnt lgkmcnt(0)
	s_barrier
	s_and_saveexec_b64 s[22:23], s[2:3]
	s_cbranch_execz .LBB25_2
; %bb.44:                               ;   in Loop: Header=BB25_3 Depth=1
	v_add_u32_e32 v24, v1, v2
	ds_read_u8 v25, v24 offset:1
	ds_read_u8 v26, v24
	s_waitcnt lgkmcnt(1)
	ds_write_b8 v24, v25
	s_waitcnt lgkmcnt(1)
	v_add_u16_e32 v25, v25, v26
	ds_write_b8 v24, v25 offset:1
	s_branch .LBB25_2
.LBB25_45:
	s_endpgm
	.section	.rodata,"a",@progbits
	.p2align	6, 0x0
	.amdhsa_kernel _Z9scan_bcaoIcLi1024EEvlPT_PKS0_
		.amdhsa_group_segment_fixed_size 2048
		.amdhsa_private_segment_fixed_size 0
		.amdhsa_kernarg_size 280
		.amdhsa_user_sgpr_count 6
		.amdhsa_user_sgpr_private_segment_buffer 1
		.amdhsa_user_sgpr_dispatch_ptr 0
		.amdhsa_user_sgpr_queue_ptr 0
		.amdhsa_user_sgpr_kernarg_segment_ptr 1
		.amdhsa_user_sgpr_dispatch_id 0
		.amdhsa_user_sgpr_flat_scratch_init 0
		.amdhsa_user_sgpr_private_segment_size 0
		.amdhsa_uses_dynamic_stack 0
		.amdhsa_system_sgpr_private_segment_wavefront_offset 0
		.amdhsa_system_sgpr_workgroup_id_x 1
		.amdhsa_system_sgpr_workgroup_id_y 0
		.amdhsa_system_sgpr_workgroup_id_z 0
		.amdhsa_system_sgpr_workgroup_info 0
		.amdhsa_system_vgpr_workitem_id 0
		.amdhsa_next_free_vgpr 35
		.amdhsa_next_free_sgpr 61
		.amdhsa_reserve_vcc 1
		.amdhsa_reserve_flat_scratch 0
		.amdhsa_float_round_mode_32 0
		.amdhsa_float_round_mode_16_64 0
		.amdhsa_float_denorm_mode_32 3
		.amdhsa_float_denorm_mode_16_64 3
		.amdhsa_dx10_clamp 1
		.amdhsa_ieee_mode 1
		.amdhsa_fp16_overflow 0
		.amdhsa_exception_fp_ieee_invalid_op 0
		.amdhsa_exception_fp_denorm_src 0
		.amdhsa_exception_fp_ieee_div_zero 0
		.amdhsa_exception_fp_ieee_overflow 0
		.amdhsa_exception_fp_ieee_underflow 0
		.amdhsa_exception_fp_ieee_inexact 0
		.amdhsa_exception_int_div_zero 0
	.end_amdhsa_kernel
	.section	.text._Z9scan_bcaoIcLi1024EEvlPT_PKS0_,"axG",@progbits,_Z9scan_bcaoIcLi1024EEvlPT_PKS0_,comdat
.Lfunc_end25:
	.size	_Z9scan_bcaoIcLi1024EEvlPT_PKS0_, .Lfunc_end25-_Z9scan_bcaoIcLi1024EEvlPT_PKS0_
                                        ; -- End function
	.set _Z9scan_bcaoIcLi1024EEvlPT_PKS0_.num_vgpr, 35
	.set _Z9scan_bcaoIcLi1024EEvlPT_PKS0_.num_agpr, 0
	.set _Z9scan_bcaoIcLi1024EEvlPT_PKS0_.numbered_sgpr, 36
	.set _Z9scan_bcaoIcLi1024EEvlPT_PKS0_.num_named_barrier, 0
	.set _Z9scan_bcaoIcLi1024EEvlPT_PKS0_.private_seg_size, 0
	.set _Z9scan_bcaoIcLi1024EEvlPT_PKS0_.uses_vcc, 1
	.set _Z9scan_bcaoIcLi1024EEvlPT_PKS0_.uses_flat_scratch, 0
	.set _Z9scan_bcaoIcLi1024EEvlPT_PKS0_.has_dyn_sized_stack, 0
	.set _Z9scan_bcaoIcLi1024EEvlPT_PKS0_.has_recursion, 0
	.set _Z9scan_bcaoIcLi1024EEvlPT_PKS0_.has_indirect_call, 0
	.section	.AMDGPU.csdata,"",@progbits
; Kernel info:
; codeLenInByte = 1824
; TotalNumSgprs: 40
; NumVgprs: 35
; ScratchSize: 0
; MemoryBound: 0
; FloatMode: 240
; IeeeMode: 1
; LDSByteSize: 2048 bytes/workgroup (compile time only)
; SGPRBlocks: 8
; VGPRBlocks: 8
; NumSGPRsForWavesPerEU: 65
; NumVGPRsForWavesPerEU: 35
; Occupancy: 7
; WaveLimiterHint : 1
; COMPUTE_PGM_RSRC2:SCRATCH_EN: 0
; COMPUTE_PGM_RSRC2:USER_SGPR: 6
; COMPUTE_PGM_RSRC2:TRAP_HANDLER: 0
; COMPUTE_PGM_RSRC2:TGID_X_EN: 1
; COMPUTE_PGM_RSRC2:TGID_Y_EN: 0
; COMPUTE_PGM_RSRC2:TGID_Z_EN: 0
; COMPUTE_PGM_RSRC2:TIDIG_COMP_CNT: 0
	.section	.text._Z4scanIsLi1024EEvlPT_PKS0_,"axG",@progbits,_Z4scanIsLi1024EEvlPT_PKS0_,comdat
	.protected	_Z4scanIsLi1024EEvlPT_PKS0_ ; -- Begin function _Z4scanIsLi1024EEvlPT_PKS0_
	.globl	_Z4scanIsLi1024EEvlPT_PKS0_
	.p2align	8
	.type	_Z4scanIsLi1024EEvlPT_PKS0_,@function
_Z4scanIsLi1024EEvlPT_PKS0_:            ; @_Z4scanIsLi1024EEvlPT_PKS0_
; %bb.0:
	s_load_dwordx2 s[26:27], s[4:5], 0x0
	s_mov_b32 s7, 0
	v_mov_b32_e32 v1, s6
	v_mov_b32_e32 v2, s7
	s_waitcnt lgkmcnt(0)
	v_cmp_le_i64_e32 vcc, s[26:27], v[1:2]
	s_cbranch_vccnz .LBB26_47
; %bb.1:
	v_lshlrev_b32_e32 v2, 1, v0
	v_or_b32_e32 v16, 1, v2
	v_add_u32_e32 v17, 2, v2
	v_lshlrev_b32_e32 v4, 2, v16
	v_lshlrev_b32_e32 v5, 2, v17
	v_add_u32_e32 v2, -2, v4
	v_add_u32_e32 v3, -2, v5
	v_add_u32_e32 v4, v2, v4
	v_add_u32_e32 v5, v3, v5
	s_load_dwordx4 s[28:31], s[4:5], 0x8
	s_load_dword s34, s[4:5], 0x18
	v_lshl_add_u32 v6, v16, 3, v4
	v_lshl_add_u32 v7, v17, 3, v5
	;; [unrolled: 1-line block ×6, first 2 shown]
	v_lshlrev_b32_e32 v1, 2, v0
	v_lshl_add_u32 v12, v16, 6, v10
	v_lshl_add_u32 v13, v17, 6, v11
	s_lshl_b64 s[24:25], s[6:7], 11
	s_mov_b32 s35, s7
	s_movk_i32 s2, 0x200
	s_movk_i32 s4, 0x1ff
	;; [unrolled: 1-line block ×4, first 2 shown]
	v_lshl_add_u32 v14, v16, 7, v12
	v_lshl_add_u32 v15, v17, 7, v13
	v_mov_b32_e32 v19, s25
	v_add_co_u32_e32 v18, vcc, s24, v1
	v_cmp_eq_u32_e64 s[0:1], 0, v0
	v_cmp_gt_u32_e64 s[2:3], s2, v0
	v_cmp_lt_u32_e64 s[4:5], s4, v0
	v_cmp_gt_u32_e64 s[8:9], s8, v0
	v_cmp_gt_u32_e64 s[10:11], s10, v0
	;; [unrolled: 1-line block ×8, first 2 shown]
	v_lshl_add_u32 v0, v16, 8, v14
	v_lshl_add_u32 v16, v17, 8, v15
	v_mov_b32_e32 v17, 0
	v_addc_co_u32_e32 v19, vcc, 0, v19, vcc
	s_waitcnt lgkmcnt(0)
	s_lshl_b64 s[36:37], s[34:35], 11
	v_mov_b32_e32 v20, s31
	s_branch .LBB26_3
.LBB26_2:                               ;   in Loop: Header=BB26_3 Depth=1
	s_or_b64 exec, exec, s[24:25]
	v_mov_b32_e32 v23, s29
	v_add_co_u32_e32 v22, vcc, s28, v18
	v_addc_co_u32_e32 v23, vcc, v23, v19, vcc
	s_waitcnt lgkmcnt(0)
	global_store_dword v[22:23], v21, off
	s_add_u32 s6, s6, s34
	v_mov_b32_e32 v21, s26
	s_addc_u32 s7, s7, 0
	v_mov_b32_e32 v22, s27
	v_cmp_ge_i64_e32 vcc, s[6:7], v[21:22]
	v_mov_b32_e32 v23, s37
	v_add_co_u32_e64 v18, s[24:25], s36, v18
	v_addc_co_u32_e64 v19, s[24:25], v19, v23, s[24:25]
	s_cbranch_vccnz .LBB26_47
.LBB26_3:                               ; =>This Inner Loop Header: Depth=1
	v_add_co_u32_e32 v21, vcc, s30, v18
	v_addc_co_u32_e32 v22, vcc, v20, v19, vcc
	global_load_dword v21, v[21:22], off
	s_waitcnt vmcnt(0)
	ds_write_b32 v1, v21
	s_waitcnt lgkmcnt(0)
	s_barrier
	s_and_saveexec_b64 s[24:25], s[2:3]
	s_cbranch_execz .LBB26_5
; %bb.4:                                ;   in Loop: Header=BB26_3 Depth=1
	ds_read_b32 v21, v1
	s_waitcnt lgkmcnt(0)
	v_add_u16_sdwa v21, v21, v21 dst_sel:DWORD dst_unused:UNUSED_PAD src0_sel:WORD_1 src1_sel:DWORD
	ds_write_b16 v1, v21 offset:2
.LBB26_5:                               ;   in Loop: Header=BB26_3 Depth=1
	s_or_b64 exec, exec, s[24:25]
	s_waitcnt lgkmcnt(0)
	s_barrier
	s_and_saveexec_b64 s[24:25], s[8:9]
	s_cbranch_execz .LBB26_7
; %bb.6:                                ;   in Loop: Header=BB26_3 Depth=1
	ds_read_u16 v21, v2
	ds_read_u16 v22, v3
	s_waitcnt lgkmcnt(0)
	v_add_u16_e32 v21, v22, v21
	ds_write_b16 v3, v21
.LBB26_7:                               ;   in Loop: Header=BB26_3 Depth=1
	s_or_b64 exec, exec, s[24:25]
	s_waitcnt lgkmcnt(0)
	s_barrier
	s_and_saveexec_b64 s[24:25], s[10:11]
	s_cbranch_execz .LBB26_9
; %bb.8:                                ;   in Loop: Header=BB26_3 Depth=1
	ds_read_u16 v21, v4
	ds_read_u16 v22, v5
	s_waitcnt lgkmcnt(0)
	v_add_u16_e32 v21, v22, v21
	ds_write_b16 v5, v21
.LBB26_9:                               ;   in Loop: Header=BB26_3 Depth=1
	s_or_b64 exec, exec, s[24:25]
	s_waitcnt lgkmcnt(0)
	s_barrier
	s_and_saveexec_b64 s[24:25], s[12:13]
	s_cbranch_execz .LBB26_11
; %bb.10:                               ;   in Loop: Header=BB26_3 Depth=1
	ds_read_u16 v21, v6
	ds_read_u16 v22, v7
	s_waitcnt lgkmcnt(0)
	v_add_u16_e32 v21, v22, v21
	ds_write_b16 v7, v21
.LBB26_11:                              ;   in Loop: Header=BB26_3 Depth=1
	s_or_b64 exec, exec, s[24:25]
	s_waitcnt lgkmcnt(0)
	s_barrier
	s_and_saveexec_b64 s[24:25], s[14:15]
	s_cbranch_execz .LBB26_13
; %bb.12:                               ;   in Loop: Header=BB26_3 Depth=1
	ds_read_u16 v21, v8
	ds_read_u16 v22, v9
	s_waitcnt lgkmcnt(0)
	v_add_u16_e32 v21, v22, v21
	ds_write_b16 v9, v21
.LBB26_13:                              ;   in Loop: Header=BB26_3 Depth=1
	;; [unrolled: 12-line block ×6, first 2 shown]
	s_or_b64 exec, exec, s[24:25]
	s_waitcnt lgkmcnt(0)
	s_barrier
	s_and_saveexec_b64 s[24:25], s[0:1]
	s_cbranch_execz .LBB26_23
; %bb.22:                               ;   in Loop: Header=BB26_3 Depth=1
	ds_read_u16 v21, v17 offset:1022
	ds_read_u16 v22, v17 offset:2046
	s_waitcnt lgkmcnt(0)
	v_add_u32_e32 v21, v22, v21
	ds_write_b16 v17, v21 offset:2046
.LBB26_23:                              ;   in Loop: Header=BB26_3 Depth=1
	s_or_b64 exec, exec, s[24:25]
	s_and_saveexec_b64 s[24:25], s[0:1]
; %bb.24:                               ;   in Loop: Header=BB26_3 Depth=1
	ds_write_b16 v17, v17 offset:2046
; %bb.25:                               ;   in Loop: Header=BB26_3 Depth=1
	s_or_b64 exec, exec, s[24:25]
	s_waitcnt lgkmcnt(0)
	s_barrier
	s_and_saveexec_b64 s[24:25], s[0:1]
	s_cbranch_execz .LBB26_27
; %bb.26:                               ;   in Loop: Header=BB26_3 Depth=1
	ds_read_u16 v21, v17 offset:2046
	ds_read_u16 v22, v17 offset:1022
	s_waitcnt lgkmcnt(1)
	ds_write_b16 v17, v21 offset:1022
	s_waitcnt lgkmcnt(1)
	v_add_u32_e32 v21, v21, v22
	ds_write_b16 v17, v21 offset:2046
.LBB26_27:                              ;   in Loop: Header=BB26_3 Depth=1
	s_or_b64 exec, exec, s[24:25]
	s_waitcnt lgkmcnt(0)
	s_barrier
	s_and_saveexec_b64 s[24:25], s[22:23]
	s_cbranch_execz .LBB26_29
; %bb.28:                               ;   in Loop: Header=BB26_3 Depth=1
	ds_read_u16 v21, v16
	ds_read_u16 v22, v0
	s_waitcnt lgkmcnt(1)
	ds_write_b16 v0, v21
	s_waitcnt lgkmcnt(1)
	v_add_u16_e32 v21, v21, v22
	ds_write_b16 v16, v21
.LBB26_29:                              ;   in Loop: Header=BB26_3 Depth=1
	s_or_b64 exec, exec, s[24:25]
	s_waitcnt lgkmcnt(0)
	s_barrier
	s_and_saveexec_b64 s[24:25], s[20:21]
	s_cbranch_execz .LBB26_31
; %bb.30:                               ;   in Loop: Header=BB26_3 Depth=1
	ds_read_u16 v21, v15
	ds_read_u16 v22, v14
	s_waitcnt lgkmcnt(1)
	ds_write_b16 v14, v21
	s_waitcnt lgkmcnt(1)
	v_add_u16_e32 v21, v21, v22
	ds_write_b16 v15, v21
.LBB26_31:                              ;   in Loop: Header=BB26_3 Depth=1
	;; [unrolled: 14-line block ×8, first 2 shown]
	s_or_b64 exec, exec, s[24:25]
	s_waitcnt lgkmcnt(0)
	s_barrier
                                        ; implicit-def: $vgpr21
	s_and_saveexec_b64 s[24:25], s[4:5]
	s_xor_b64 s[24:25], exec, s[24:25]
; %bb.44:                               ;   in Loop: Header=BB26_3 Depth=1
	ds_read_b32 v21, v1
; %bb.45:                               ;   in Loop: Header=BB26_3 Depth=1
	s_andn2_saveexec_b64 s[24:25], s[24:25]
	s_cbranch_execz .LBB26_2
; %bb.46:                               ;   in Loop: Header=BB26_3 Depth=1
	s_waitcnt lgkmcnt(0)
	ds_read_b32 v21, v1
	s_waitcnt lgkmcnt(0)
	v_add_u16_sdwa v22, v21, v21 dst_sel:DWORD dst_unused:UNUSED_PAD src0_sel:WORD_1 src1_sel:DWORD
	v_alignbit_b32 v21, v22, v21, 16
	ds_write_b32 v1, v21
	s_branch .LBB26_2
.LBB26_47:
	s_endpgm
	.section	.rodata,"a",@progbits
	.p2align	6, 0x0
	.amdhsa_kernel _Z4scanIsLi1024EEvlPT_PKS0_
		.amdhsa_group_segment_fixed_size 2048
		.amdhsa_private_segment_fixed_size 0
		.amdhsa_kernarg_size 280
		.amdhsa_user_sgpr_count 6
		.amdhsa_user_sgpr_private_segment_buffer 1
		.amdhsa_user_sgpr_dispatch_ptr 0
		.amdhsa_user_sgpr_queue_ptr 0
		.amdhsa_user_sgpr_kernarg_segment_ptr 1
		.amdhsa_user_sgpr_dispatch_id 0
		.amdhsa_user_sgpr_flat_scratch_init 0
		.amdhsa_user_sgpr_private_segment_size 0
		.amdhsa_uses_dynamic_stack 0
		.amdhsa_system_sgpr_private_segment_wavefront_offset 0
		.amdhsa_system_sgpr_workgroup_id_x 1
		.amdhsa_system_sgpr_workgroup_id_y 0
		.amdhsa_system_sgpr_workgroup_id_z 0
		.amdhsa_system_sgpr_workgroup_info 0
		.amdhsa_system_vgpr_workitem_id 0
		.amdhsa_next_free_vgpr 29
		.amdhsa_next_free_sgpr 61
		.amdhsa_reserve_vcc 1
		.amdhsa_reserve_flat_scratch 0
		.amdhsa_float_round_mode_32 0
		.amdhsa_float_round_mode_16_64 0
		.amdhsa_float_denorm_mode_32 3
		.amdhsa_float_denorm_mode_16_64 3
		.amdhsa_dx10_clamp 1
		.amdhsa_ieee_mode 1
		.amdhsa_fp16_overflow 0
		.amdhsa_exception_fp_ieee_invalid_op 0
		.amdhsa_exception_fp_denorm_src 0
		.amdhsa_exception_fp_ieee_div_zero 0
		.amdhsa_exception_fp_ieee_overflow 0
		.amdhsa_exception_fp_ieee_underflow 0
		.amdhsa_exception_fp_ieee_inexact 0
		.amdhsa_exception_int_div_zero 0
	.end_amdhsa_kernel
	.section	.text._Z4scanIsLi1024EEvlPT_PKS0_,"axG",@progbits,_Z4scanIsLi1024EEvlPT_PKS0_,comdat
.Lfunc_end26:
	.size	_Z4scanIsLi1024EEvlPT_PKS0_, .Lfunc_end26-_Z4scanIsLi1024EEvlPT_PKS0_
                                        ; -- End function
	.set _Z4scanIsLi1024EEvlPT_PKS0_.num_vgpr, 24
	.set _Z4scanIsLi1024EEvlPT_PKS0_.num_agpr, 0
	.set _Z4scanIsLi1024EEvlPT_PKS0_.numbered_sgpr, 38
	.set _Z4scanIsLi1024EEvlPT_PKS0_.num_named_barrier, 0
	.set _Z4scanIsLi1024EEvlPT_PKS0_.private_seg_size, 0
	.set _Z4scanIsLi1024EEvlPT_PKS0_.uses_vcc, 1
	.set _Z4scanIsLi1024EEvlPT_PKS0_.uses_flat_scratch, 0
	.set _Z4scanIsLi1024EEvlPT_PKS0_.has_dyn_sized_stack, 0
	.set _Z4scanIsLi1024EEvlPT_PKS0_.has_recursion, 0
	.set _Z4scanIsLi1024EEvlPT_PKS0_.has_indirect_call, 0
	.section	.AMDGPU.csdata,"",@progbits
; Kernel info:
; codeLenInByte = 1616
; TotalNumSgprs: 42
; NumVgprs: 24
; ScratchSize: 0
; MemoryBound: 0
; FloatMode: 240
; IeeeMode: 1
; LDSByteSize: 2048 bytes/workgroup (compile time only)
; SGPRBlocks: 8
; VGPRBlocks: 7
; NumSGPRsForWavesPerEU: 65
; NumVGPRsForWavesPerEU: 29
; Occupancy: 8
; WaveLimiterHint : 0
; COMPUTE_PGM_RSRC2:SCRATCH_EN: 0
; COMPUTE_PGM_RSRC2:USER_SGPR: 6
; COMPUTE_PGM_RSRC2:TRAP_HANDLER: 0
; COMPUTE_PGM_RSRC2:TGID_X_EN: 1
; COMPUTE_PGM_RSRC2:TGID_Y_EN: 0
; COMPUTE_PGM_RSRC2:TGID_Z_EN: 0
; COMPUTE_PGM_RSRC2:TIDIG_COMP_CNT: 0
	.section	.text._Z9scan_bcaoIsLi1024EEvlPT_PKS0_,"axG",@progbits,_Z9scan_bcaoIsLi1024EEvlPT_PKS0_,comdat
	.protected	_Z9scan_bcaoIsLi1024EEvlPT_PKS0_ ; -- Begin function _Z9scan_bcaoIsLi1024EEvlPT_PKS0_
	.globl	_Z9scan_bcaoIsLi1024EEvlPT_PKS0_
	.p2align	8
	.type	_Z9scan_bcaoIsLi1024EEvlPT_PKS0_,@function
_Z9scan_bcaoIsLi1024EEvlPT_PKS0_:       ; @_Z9scan_bcaoIsLi1024EEvlPT_PKS0_
; %bb.0:
	s_load_dwordx2 s[28:29], s[4:5], 0x0
	s_mov_b32 s7, 0
	v_mov_b32_e32 v1, s6
	v_mov_b32_e32 v2, s7
	s_waitcnt lgkmcnt(0)
	v_cmp_le_i64_e32 vcc, s[28:29], v[1:2]
	s_cbranch_vccnz .LBB27_45
; %bb.1:
	v_lshlrev_b32_e32 v20, 1, v0
	v_or_b32_e32 v18, 1, v20
	v_lshlrev_b32_e32 v6, 1, v18
	v_add_u32_e32 v19, 2, v20
	v_add_u32_e32 v7, -1, v6
	v_lshlrev_b32_e32 v8, 1, v19
	v_add_u32_e32 v11, v7, v6
	v_add_u32_e32 v9, -1, v8
	v_lshrrev_b32_e32 v4, 4, v7
	v_lshrrev_b32_e32 v6, 4, v11
	v_and_b32_e32 v4, 0xfe, v4
	v_lshrrev_b32_e32 v5, 4, v9
	v_add_u32_e32 v8, v9, v8
	v_and_b32_e32 v6, 0xffffffe, v6
	v_lshl_add_u32 v4, v7, 1, v4
	v_lshlrev_b32_e32 v10, 1, v9
	v_and_b32_e32 v5, 0xffffffe, v5
	v_lshl_add_u32 v6, v11, 1, v6
	v_lshlrev_b32_e32 v9, 2, v19
	v_lshrrev_b32_e32 v7, 4, v8
	v_lshl_add_u32 v11, v18, 2, v11
	v_add_u32_e32 v5, v10, v5
	v_add_u32_e32 v10, v10, v9
	v_and_b32_e32 v7, 0xffffffe, v7
	v_lshlrev_b32_e32 v13, 3, v19
	v_lshl_add_u32 v15, v18, 3, v11
	v_add_u32_e32 v7, v10, v7
	v_add_u32_e32 v12, v8, v9
	v_lshrrev_b32_e32 v8, 4, v11
	v_add_u32_e32 v14, v10, v13
	v_lshrrev_b32_e32 v10, 4, v15
	v_and_b32_e32 v8, 0xffffffe, v8
	v_lshrrev_b32_e32 v9, 4, v12
	v_add_u32_e32 v12, v12, v13
	v_and_b32_e32 v10, 0xffffffe, v10
	v_lshl_add_u32 v8, v11, 1, v8
	v_and_b32_e32 v9, 0xffffffe, v9
	v_lshl_add_u32 v10, v15, 1, v10
	v_lshlrev_b32_e32 v13, 4, v19
	v_lshrrev_b32_e32 v11, 4, v12
	v_lshl_add_u32 v15, v18, 4, v15
	v_add_u32_e32 v9, v14, v9
	v_add_u32_e32 v14, v14, v13
	v_and_b32_e32 v11, 0xffffffe, v11
	v_lshlrev_b32_e32 v17, 5, v19
	v_lshl_add_u32 v23, v18, 5, v15
	v_add_u32_e32 v11, v14, v11
	v_add_u32_e32 v22, v14, v17
	v_lshrrev_b32_e32 v14, 4, v23
	s_load_dwordx4 s[24:27], s[4:5], 0x8
	s_load_dword s30, s[4:5], 0x18
	v_add_u32_e32 v16, v12, v13
	v_lshrrev_b32_e32 v12, 4, v15
	v_and_b32_e32 v14, 0xffffffe, v14
	v_and_b32_e32 v12, 0xffffffe, v12
	v_lshrrev_b32_e32 v13, 4, v16
	v_add_u32_e32 v16, v16, v17
	v_lshl_add_u32 v14, v23, 1, v14
	v_lshlrev_b32_e32 v17, 6, v19
	v_lshl_add_u32 v23, v18, 6, v23
	v_lshl_add_u32 v12, v15, 1, v12
	v_lshrrev_b32_e32 v15, 4, v16
	v_add_u32_e32 v24, v16, v17
	v_lshrrev_b32_e32 v16, 4, v23
	v_and_b32_e32 v16, 0xffffffe, v16
	v_lshlrev_b32_e32 v25, 7, v19
	v_add_u32_e32 v2, 0x200, v0
	s_mov_b32 s31, s7
	v_and_b32_e32 v13, 0xffffffe, v13
	v_lshl_add_u32 v16, v23, 1, v16
	v_lshl_add_u32 v18, v18, 7, v23
	v_add_u32_e32 v23, v24, v25
	v_lshrrev_b32_e32 v1, 4, v0
	v_lshrrev_b32_e32 v2, 4, v2
	;; [unrolled: 1-line block ×3, first 2 shown]
	v_add_u32_e32 v13, v22, v13
	v_add_u32_e32 v22, v22, v17
	v_and_b32_e32 v15, 0xffffffe, v15
	v_lshrrev_b32_e32 v17, 4, v24
	v_lshrrev_b32_e32 v24, 4, v18
	;; [unrolled: 1-line block ×3, first 2 shown]
	s_lshl_b64 s[22:23], s[6:7], 11
	s_waitcnt lgkmcnt(0)
	s_lshl_b64 s[34:35], s[30:31], 11
	s_movk_i32 s2, 0x200
	v_and_b32_e32 v1, 62, v1
	v_and_b32_e32 v2, 0x7e, v2
	;; [unrolled: 1-line block ×3, first 2 shown]
	s_movk_i32 s4, 0x100
	s_movk_i32 s8, 0x80
	v_add_u32_e32 v15, v22, v15
	v_add_u32_e32 v22, v22, v25
	v_and_b32_e32 v17, 0xffffffe, v17
	v_and_b32_e32 v24, 0xffffffe, v24
	v_lshlrev_b32_e32 v19, 8, v19
	v_and_b32_e32 v23, 0xffffffe, v23
	s_add_u32 s24, s24, 0x400
	v_add_u32_e32 v1, v20, v1
	v_add_u32_e32 v2, v20, v2
	v_cmp_eq_u32_e64 s[0:1], 0, v0
	v_cmp_gt_u32_e64 s[2:3], s2, v0
	v_add3_u32 v3, v20, v20, v21
	v_cmp_gt_u32_e64 s[4:5], s4, v0
	v_cmp_gt_u32_e64 s[8:9], s8, v0
	;; [unrolled: 1-line block ×7, first 2 shown]
	v_add_u32_e32 v17, v22, v17
	v_cmp_gt_u32_e64 s[20:21], 2, v0
	v_lshl_add_u32 v18, v18, 1, v24
	v_add3_u32 v19, v22, v19, v23
	v_lshl_add_u32 v0, v0, 2, v21
	v_or_b32_e32 v20, s22, v20
	v_mov_b32_e32 v21, s23
	s_addc_u32 s25, s25, 0
	v_mov_b32_e32 v22, s27
	v_mov_b32_e32 v23, 0
	s_branch .LBB27_3
.LBB27_2:                               ;   in Loop: Header=BB27_3 Depth=1
	s_or_b64 exec, exec, s[22:23]
	s_waitcnt lgkmcnt(0)
	s_barrier
	ds_read_u16 v26, v1
	ds_read_u16 v27, v2 offset:1024
	v_mov_b32_e32 v25, s25
	v_add_co_u32_e32 v24, vcc, s24, v20
	v_addc_co_u32_e32 v25, vcc, v25, v21, vcc
	s_waitcnt lgkmcnt(1)
	global_store_short v[24:25], v26, off offset:-1024
	s_waitcnt lgkmcnt(0)
	global_store_short v[24:25], v27, off
	s_add_u32 s6, s6, s30
	v_mov_b32_e32 v24, s28
	s_addc_u32 s7, s7, 0
	v_mov_b32_e32 v25, s29
	v_cmp_ge_i64_e32 vcc, s[6:7], v[24:25]
	v_mov_b32_e32 v26, s35
	v_add_co_u32_e64 v20, s[22:23], s34, v20
	v_addc_co_u32_e64 v21, s[22:23], v21, v26, s[22:23]
	s_cbranch_vccnz .LBB27_45
.LBB27_3:                               ; =>This Inner Loop Header: Depth=1
	v_add_co_u32_e32 v24, vcc, s26, v20
	v_addc_co_u32_e32 v25, vcc, v22, v21, vcc
	global_load_ushort v26, v[24:25], off
	global_load_ushort v27, v[24:25], off offset:1024
	s_waitcnt vmcnt(1)
	ds_write_b16 v1, v26
	s_waitcnt vmcnt(0)
	ds_write_b16 v2, v27 offset:1024
	s_waitcnt lgkmcnt(0)
	s_barrier
	s_and_saveexec_b64 s[22:23], s[2:3]
	s_cbranch_execz .LBB27_5
; %bb.4:                                ;   in Loop: Header=BB27_3 Depth=1
	ds_read_u16 v24, v3
	ds_read_u16 v25, v3 offset:2
	s_waitcnt lgkmcnt(0)
	v_add_u16_e32 v24, v25, v24
	ds_write_b16 v3, v24 offset:2
.LBB27_5:                               ;   in Loop: Header=BB27_3 Depth=1
	s_or_b64 exec, exec, s[22:23]
	s_waitcnt lgkmcnt(0)
	s_barrier
	s_and_saveexec_b64 s[22:23], s[4:5]
	s_cbranch_execz .LBB27_7
; %bb.6:                                ;   in Loop: Header=BB27_3 Depth=1
	ds_read_u16 v24, v4
	ds_read_u16 v25, v5
	s_waitcnt lgkmcnt(0)
	v_add_u16_e32 v24, v25, v24
	ds_write_b16 v5, v24
.LBB27_7:                               ;   in Loop: Header=BB27_3 Depth=1
	s_or_b64 exec, exec, s[22:23]
	s_waitcnt lgkmcnt(0)
	s_barrier
	s_and_saveexec_b64 s[22:23], s[8:9]
	s_cbranch_execz .LBB27_9
; %bb.8:                                ;   in Loop: Header=BB27_3 Depth=1
	ds_read_u16 v24, v6
	ds_read_u16 v25, v7
	s_waitcnt lgkmcnt(0)
	v_add_u16_e32 v24, v25, v24
	ds_write_b16 v7, v24
.LBB27_9:                               ;   in Loop: Header=BB27_3 Depth=1
	s_or_b64 exec, exec, s[22:23]
	s_waitcnt lgkmcnt(0)
	s_barrier
	s_and_saveexec_b64 s[22:23], s[10:11]
	s_cbranch_execz .LBB27_11
; %bb.10:                               ;   in Loop: Header=BB27_3 Depth=1
	ds_read_u16 v24, v8
	ds_read_u16 v25, v9
	s_waitcnt lgkmcnt(0)
	v_add_u16_e32 v24, v25, v24
	ds_write_b16 v9, v24
.LBB27_11:                              ;   in Loop: Header=BB27_3 Depth=1
	s_or_b64 exec, exec, s[22:23]
	s_waitcnt lgkmcnt(0)
	s_barrier
	s_and_saveexec_b64 s[22:23], s[12:13]
	s_cbranch_execz .LBB27_13
; %bb.12:                               ;   in Loop: Header=BB27_3 Depth=1
	ds_read_u16 v24, v10
	ds_read_u16 v25, v11
	s_waitcnt lgkmcnt(0)
	v_add_u16_e32 v24, v25, v24
	ds_write_b16 v11, v24
.LBB27_13:                              ;   in Loop: Header=BB27_3 Depth=1
	;; [unrolled: 12-line block ×6, first 2 shown]
	s_or_b64 exec, exec, s[22:23]
	s_waitcnt lgkmcnt(0)
	s_barrier
	s_and_saveexec_b64 s[22:23], s[0:1]
	s_cbranch_execz .LBB27_23
; %bb.22:                               ;   in Loop: Header=BB27_3 Depth=1
	ds_read_u16 v24, v23 offset:1052
	ds_read_u16 v25, v23 offset:2108
	s_waitcnt lgkmcnt(0)
	v_add_u32_e32 v24, v25, v24
	ds_write_b16 v23, v24 offset:2108
.LBB27_23:                              ;   in Loop: Header=BB27_3 Depth=1
	s_or_b64 exec, exec, s[22:23]
	s_and_saveexec_b64 s[22:23], s[0:1]
; %bb.24:                               ;   in Loop: Header=BB27_3 Depth=1
	ds_write_b16 v23, v23 offset:2108
; %bb.25:                               ;   in Loop: Header=BB27_3 Depth=1
	s_or_b64 exec, exec, s[22:23]
	s_waitcnt lgkmcnt(0)
	s_barrier
	s_and_saveexec_b64 s[22:23], s[0:1]
	s_cbranch_execz .LBB27_27
; %bb.26:                               ;   in Loop: Header=BB27_3 Depth=1
	ds_read_u16 v24, v23 offset:2108
	ds_read_u16 v25, v23 offset:1052
	s_waitcnt lgkmcnt(1)
	ds_write_b16 v23, v24 offset:1052
	s_waitcnt lgkmcnt(1)
	v_add_u32_e32 v24, v24, v25
	ds_write_b16 v23, v24 offset:2108
.LBB27_27:                              ;   in Loop: Header=BB27_3 Depth=1
	s_or_b64 exec, exec, s[22:23]
	s_waitcnt lgkmcnt(0)
	s_barrier
	s_and_saveexec_b64 s[22:23], s[20:21]
	s_cbranch_execz .LBB27_29
; %bb.28:                               ;   in Loop: Header=BB27_3 Depth=1
	ds_read_u16 v24, v19
	ds_read_u16 v25, v18
	s_waitcnt lgkmcnt(1)
	ds_write_b16 v18, v24
	s_waitcnt lgkmcnt(1)
	v_add_u16_e32 v24, v24, v25
	ds_write_b16 v19, v24
.LBB27_29:                              ;   in Loop: Header=BB27_3 Depth=1
	s_or_b64 exec, exec, s[22:23]
	s_waitcnt lgkmcnt(0)
	s_barrier
	s_and_saveexec_b64 s[22:23], s[18:19]
	s_cbranch_execz .LBB27_31
; %bb.30:                               ;   in Loop: Header=BB27_3 Depth=1
	ds_read_u16 v24, v17
	ds_read_u16 v25, v16
	s_waitcnt lgkmcnt(1)
	ds_write_b16 v16, v24
	s_waitcnt lgkmcnt(1)
	v_add_u16_e32 v24, v24, v25
	ds_write_b16 v17, v24
.LBB27_31:                              ;   in Loop: Header=BB27_3 Depth=1
	;; [unrolled: 14-line block ×8, first 2 shown]
	s_or_b64 exec, exec, s[22:23]
	s_waitcnt lgkmcnt(0)
	s_barrier
	s_and_saveexec_b64 s[22:23], s[2:3]
	s_cbranch_execz .LBB27_2
; %bb.44:                               ;   in Loop: Header=BB27_3 Depth=1
	ds_read_u16 v24, v0 offset:2
	ds_read_u16 v25, v0
	s_waitcnt lgkmcnt(1)
	ds_write_b16 v0, v24
	s_waitcnt lgkmcnt(1)
	v_add_u16_e32 v24, v24, v25
	ds_write_b16 v0, v24 offset:2
	s_branch .LBB27_2
.LBB27_45:
	s_endpgm
	.section	.rodata,"a",@progbits
	.p2align	6, 0x0
	.amdhsa_kernel _Z9scan_bcaoIsLi1024EEvlPT_PKS0_
		.amdhsa_group_segment_fixed_size 4096
		.amdhsa_private_segment_fixed_size 0
		.amdhsa_kernarg_size 280
		.amdhsa_user_sgpr_count 6
		.amdhsa_user_sgpr_private_segment_buffer 1
		.amdhsa_user_sgpr_dispatch_ptr 0
		.amdhsa_user_sgpr_queue_ptr 0
		.amdhsa_user_sgpr_kernarg_segment_ptr 1
		.amdhsa_user_sgpr_dispatch_id 0
		.amdhsa_user_sgpr_flat_scratch_init 0
		.amdhsa_user_sgpr_private_segment_size 0
		.amdhsa_uses_dynamic_stack 0
		.amdhsa_system_sgpr_private_segment_wavefront_offset 0
		.amdhsa_system_sgpr_workgroup_id_x 1
		.amdhsa_system_sgpr_workgroup_id_y 0
		.amdhsa_system_sgpr_workgroup_id_z 0
		.amdhsa_system_sgpr_workgroup_info 0
		.amdhsa_system_vgpr_workitem_id 0
		.amdhsa_next_free_vgpr 29
		.amdhsa_next_free_sgpr 61
		.amdhsa_reserve_vcc 1
		.amdhsa_reserve_flat_scratch 0
		.amdhsa_float_round_mode_32 0
		.amdhsa_float_round_mode_16_64 0
		.amdhsa_float_denorm_mode_32 3
		.amdhsa_float_denorm_mode_16_64 3
		.amdhsa_dx10_clamp 1
		.amdhsa_ieee_mode 1
		.amdhsa_fp16_overflow 0
		.amdhsa_exception_fp_ieee_invalid_op 0
		.amdhsa_exception_fp_denorm_src 0
		.amdhsa_exception_fp_ieee_div_zero 0
		.amdhsa_exception_fp_ieee_overflow 0
		.amdhsa_exception_fp_ieee_underflow 0
		.amdhsa_exception_fp_ieee_inexact 0
		.amdhsa_exception_int_div_zero 0
	.end_amdhsa_kernel
	.section	.text._Z9scan_bcaoIsLi1024EEvlPT_PKS0_,"axG",@progbits,_Z9scan_bcaoIsLi1024EEvlPT_PKS0_,comdat
.Lfunc_end27:
	.size	_Z9scan_bcaoIsLi1024EEvlPT_PKS0_, .Lfunc_end27-_Z9scan_bcaoIsLi1024EEvlPT_PKS0_
                                        ; -- End function
	.set _Z9scan_bcaoIsLi1024EEvlPT_PKS0_.num_vgpr, 28
	.set _Z9scan_bcaoIsLi1024EEvlPT_PKS0_.num_agpr, 0
	.set _Z9scan_bcaoIsLi1024EEvlPT_PKS0_.numbered_sgpr, 36
	.set _Z9scan_bcaoIsLi1024EEvlPT_PKS0_.num_named_barrier, 0
	.set _Z9scan_bcaoIsLi1024EEvlPT_PKS0_.private_seg_size, 0
	.set _Z9scan_bcaoIsLi1024EEvlPT_PKS0_.uses_vcc, 1
	.set _Z9scan_bcaoIsLi1024EEvlPT_PKS0_.uses_flat_scratch, 0
	.set _Z9scan_bcaoIsLi1024EEvlPT_PKS0_.has_dyn_sized_stack, 0
	.set _Z9scan_bcaoIsLi1024EEvlPT_PKS0_.has_recursion, 0
	.set _Z9scan_bcaoIsLi1024EEvlPT_PKS0_.has_indirect_call, 0
	.section	.AMDGPU.csdata,"",@progbits
; Kernel info:
; codeLenInByte = 2044
; TotalNumSgprs: 40
; NumVgprs: 28
; ScratchSize: 0
; MemoryBound: 0
; FloatMode: 240
; IeeeMode: 1
; LDSByteSize: 4096 bytes/workgroup (compile time only)
; SGPRBlocks: 8
; VGPRBlocks: 7
; NumSGPRsForWavesPerEU: 65
; NumVGPRsForWavesPerEU: 29
; Occupancy: 8
; WaveLimiterHint : 1
; COMPUTE_PGM_RSRC2:SCRATCH_EN: 0
; COMPUTE_PGM_RSRC2:USER_SGPR: 6
; COMPUTE_PGM_RSRC2:TRAP_HANDLER: 0
; COMPUTE_PGM_RSRC2:TGID_X_EN: 1
; COMPUTE_PGM_RSRC2:TGID_Y_EN: 0
; COMPUTE_PGM_RSRC2:TGID_Z_EN: 0
; COMPUTE_PGM_RSRC2:TIDIG_COMP_CNT: 0
	.section	.text._Z4scanIiLi1024EEvlPT_PKS0_,"axG",@progbits,_Z4scanIiLi1024EEvlPT_PKS0_,comdat
	.protected	_Z4scanIiLi1024EEvlPT_PKS0_ ; -- Begin function _Z4scanIiLi1024EEvlPT_PKS0_
	.globl	_Z4scanIiLi1024EEvlPT_PKS0_
	.p2align	8
	.type	_Z4scanIiLi1024EEvlPT_PKS0_,@function
_Z4scanIiLi1024EEvlPT_PKS0_:            ; @_Z4scanIiLi1024EEvlPT_PKS0_
; %bb.0:
	s_load_dwordx2 s[34:35], s[4:5], 0x0
	s_mov_b32 s7, 0
	v_mov_b32_e32 v1, s6
	v_mov_b32_e32 v2, s7
	s_waitcnt lgkmcnt(0)
	v_cmp_le_i64_e32 vcc, s[34:35], v[1:2]
	s_cbranch_vccnz .LBB28_47
; %bb.1:
	v_lshlrev_b32_e32 v1, 1, v0
	v_or_b32_e32 v2, 1, v1
	v_add_u32_e32 v1, 2, v1
	v_lshlrev_b32_e32 v8, 3, v1
	s_load_dwordx4 s[24:27], s[4:5], 0x8
	s_load_dword s28, s[4:5], 0x18
	v_lshlrev_b32_e32 v3, 3, v2
	v_add_u32_e32 v6, -4, v8
	v_add_u32_e32 v5, -4, v3
	v_add_u32_e32 v8, v6, v8
	v_add_u32_e32 v7, v5, v3
	v_lshl_add_u32 v10, v1, 4, v8
	v_lshl_add_u32 v9, v2, 4, v7
	;; [unrolled: 1-line block ×3, first 2 shown]
	v_lshlrev_b32_e32 v4, 3, v0
	s_mov_b32 s29, s7
	s_movk_i32 s2, 0x200
	s_movk_i32 s4, 0x1ff
	;; [unrolled: 1-line block ×4, first 2 shown]
	v_lshl_add_u32 v11, v2, 5, v9
	v_lshl_add_u32 v14, v1, 6, v12
	s_lshl_b64 s[30:31], s[6:7], 12
	v_cmp_eq_u32_e64 s[0:1], 0, v0
	v_cmp_gt_u32_e64 s[2:3], s2, v0
	v_cmp_lt_u32_e64 s[4:5], s4, v0
	v_cmp_gt_u32_e64 s[8:9], s8, v0
	v_cmp_gt_u32_e64 s[10:11], s10, v0
	;; [unrolled: 1-line block ×5, first 2 shown]
	v_lshl_add_u32 v13, v2, 6, v11
	v_cmp_gt_u32_e64 s[18:19], 8, v0
	v_lshl_add_u32 v16, v1, 7, v14
	v_cmp_gt_u32_e64 s[20:21], 4, v0
	v_cmp_gt_u32_e64 s[22:23], 2, v0
	v_mov_b32_e32 v0, s31
	v_add_co_u32_e32 v22, vcc, s30, v4
	s_waitcnt lgkmcnt(0)
	s_lshl_b64 s[30:31], s[28:29], 12
	v_lshl_add_u32 v15, v2, 7, v13
	v_lshl_add_u32 v18, v1, 8, v16
	s_add_u32 s29, s24, 4
	v_lshl_add_u32 v17, v2, 8, v15
	v_lshl_add_u32 v20, v1, 9, v18
	v_addc_co_u32_e32 v23, vcc, 0, v0, vcc
	s_addc_u32 s24, s25, 0
	s_movk_i32 s25, 0xfc
	v_mov_b32_e32 v0, s34
	v_lshl_add_u32 v19, v2, 9, v17
	v_mov_b32_e32 v21, 0
	v_mov_b32_e32 v24, s27
	v_add_u32_e64 v25, s25, 0
	v_mov_b32_e32 v26, s24
	v_mov_b32_e32 v27, s31
	;; [unrolled: 1-line block ×3, first 2 shown]
	s_branch .LBB28_3
.LBB28_2:                               ;   in Loop: Header=BB28_3 Depth=1
	s_or_b64 exec, exec, s[24:25]
	v_add_co_u32_e32 v28, vcc, s29, v22
	s_add_u32 s6, s6, s28
	v_addc_co_u32_e32 v29, vcc, v26, v23, vcc
	s_addc_u32 s7, s7, 0
	v_cmp_ge_i64_e32 vcc, s[6:7], v[0:1]
	v_add_co_u32_e64 v22, s[24:25], s30, v22
	v_addc_co_u32_e64 v23, s[24:25], v23, v27, s[24:25]
	s_waitcnt lgkmcnt(0)
	global_store_dwordx2 v[28:29], v[2:3], off offset:-4
	s_cbranch_vccnz .LBB28_47
.LBB28_3:                               ; =>This Inner Loop Header: Depth=1
	v_add_co_u32_e32 v2, vcc, s26, v22
	v_addc_co_u32_e32 v3, vcc, v24, v23, vcc
	global_load_dwordx2 v[2:3], v[2:3], off
	s_waitcnt vmcnt(0)
	ds_write_b64 v4, v[2:3]
	s_waitcnt lgkmcnt(0)
	s_barrier
	s_and_saveexec_b64 s[24:25], s[2:3]
	s_cbranch_execz .LBB28_5
; %bb.4:                                ;   in Loop: Header=BB28_3 Depth=1
	ds_read_b64 v[2:3], v4
	s_waitcnt lgkmcnt(0)
	v_add_u32_e32 v2, v3, v2
	ds_write_b32 v4, v2 offset:4
.LBB28_5:                               ;   in Loop: Header=BB28_3 Depth=1
	s_or_b64 exec, exec, s[24:25]
	s_waitcnt lgkmcnt(0)
	s_barrier
	s_and_saveexec_b64 s[24:25], s[8:9]
	s_cbranch_execz .LBB28_7
; %bb.6:                                ;   in Loop: Header=BB28_3 Depth=1
	ds_read_b32 v2, v5
	ds_read_b32 v3, v6
	s_waitcnt lgkmcnt(0)
	v_add_u32_e32 v2, v3, v2
	ds_write_b32 v6, v2
.LBB28_7:                               ;   in Loop: Header=BB28_3 Depth=1
	s_or_b64 exec, exec, s[24:25]
	s_waitcnt lgkmcnt(0)
	s_barrier
	s_and_saveexec_b64 s[24:25], s[10:11]
	s_cbranch_execz .LBB28_9
; %bb.8:                                ;   in Loop: Header=BB28_3 Depth=1
	ds_read_b32 v2, v7
	ds_read_b32 v3, v8
	s_waitcnt lgkmcnt(0)
	v_add_u32_e32 v2, v3, v2
	ds_write_b32 v8, v2
.LBB28_9:                               ;   in Loop: Header=BB28_3 Depth=1
	s_or_b64 exec, exec, s[24:25]
	s_waitcnt lgkmcnt(0)
	s_barrier
	s_and_saveexec_b64 s[24:25], s[12:13]
	s_cbranch_execz .LBB28_11
; %bb.10:                               ;   in Loop: Header=BB28_3 Depth=1
	ds_read_b32 v2, v9
	ds_read_b32 v3, v10
	s_waitcnt lgkmcnt(0)
	v_add_u32_e32 v2, v3, v2
	ds_write_b32 v10, v2
.LBB28_11:                              ;   in Loop: Header=BB28_3 Depth=1
	s_or_b64 exec, exec, s[24:25]
	s_waitcnt lgkmcnt(0)
	s_barrier
	s_and_saveexec_b64 s[24:25], s[14:15]
	s_cbranch_execz .LBB28_13
; %bb.12:                               ;   in Loop: Header=BB28_3 Depth=1
	ds_read_b32 v2, v11
	ds_read_b32 v3, v12
	s_waitcnt lgkmcnt(0)
	v_add_u32_e32 v2, v3, v2
	ds_write_b32 v12, v2
.LBB28_13:                              ;   in Loop: Header=BB28_3 Depth=1
	;; [unrolled: 12-line block ×6, first 2 shown]
	s_or_b64 exec, exec, s[24:25]
	s_waitcnt lgkmcnt(0)
	s_barrier
	s_and_saveexec_b64 s[24:25], s[0:1]
	s_cbranch_execz .LBB28_23
; %bb.22:                               ;   in Loop: Header=BB28_3 Depth=1
	ds_read2st64_b32 v[2:3], v25 offset0:7 offset1:15
	s_waitcnt lgkmcnt(0)
	v_add_u32_e32 v2, v3, v2
	ds_write_b32 v21, v2 offset:4092
.LBB28_23:                              ;   in Loop: Header=BB28_3 Depth=1
	s_or_b64 exec, exec, s[24:25]
	s_and_saveexec_b64 s[24:25], s[0:1]
; %bb.24:                               ;   in Loop: Header=BB28_3 Depth=1
	ds_write_b32 v21, v21 offset:4092
; %bb.25:                               ;   in Loop: Header=BB28_3 Depth=1
	s_or_b64 exec, exec, s[24:25]
	s_waitcnt lgkmcnt(0)
	s_barrier
	s_and_saveexec_b64 s[24:25], s[0:1]
	s_cbranch_execz .LBB28_27
; %bb.26:                               ;   in Loop: Header=BB28_3 Depth=1
	ds_read2st64_b32 v[2:3], v25 offset0:7 offset1:15
	s_waitcnt lgkmcnt(0)
	v_add_u32_e32 v2, v3, v2
	ds_write2st64_b32 v25, v3, v2 offset0:7 offset1:15
.LBB28_27:                              ;   in Loop: Header=BB28_3 Depth=1
	s_or_b64 exec, exec, s[24:25]
	s_waitcnt lgkmcnt(0)
	s_barrier
	s_and_saveexec_b64 s[24:25], s[22:23]
	s_cbranch_execz .LBB28_29
; %bb.28:                               ;   in Loop: Header=BB28_3 Depth=1
	ds_read_b32 v2, v20
	ds_read_b32 v3, v19
	s_waitcnt lgkmcnt(1)
	ds_write_b32 v19, v2
	s_waitcnt lgkmcnt(1)
	v_add_u32_e32 v2, v2, v3
	ds_write_b32 v20, v2
.LBB28_29:                              ;   in Loop: Header=BB28_3 Depth=1
	s_or_b64 exec, exec, s[24:25]
	s_waitcnt lgkmcnt(0)
	s_barrier
	s_and_saveexec_b64 s[24:25], s[20:21]
	s_cbranch_execz .LBB28_31
; %bb.30:                               ;   in Loop: Header=BB28_3 Depth=1
	ds_read_b32 v2, v18
	ds_read_b32 v3, v17
	s_waitcnt lgkmcnt(1)
	ds_write_b32 v17, v2
	s_waitcnt lgkmcnt(1)
	v_add_u32_e32 v2, v2, v3
	ds_write_b32 v18, v2
.LBB28_31:                              ;   in Loop: Header=BB28_3 Depth=1
	;; [unrolled: 14-line block ×8, first 2 shown]
	s_or_b64 exec, exec, s[24:25]
	s_waitcnt lgkmcnt(0)
	s_barrier
                                        ; implicit-def: $vgpr2
	s_and_saveexec_b64 s[24:25], s[4:5]
	s_xor_b64 s[24:25], exec, s[24:25]
; %bb.44:                               ;   in Loop: Header=BB28_3 Depth=1
	ds_read_b64 v[2:3], v4
; %bb.45:                               ;   in Loop: Header=BB28_3 Depth=1
	s_andn2_saveexec_b64 s[24:25], s[24:25]
	s_cbranch_execz .LBB28_2
; %bb.46:                               ;   in Loop: Header=BB28_3 Depth=1
	ds_read_b64 v[28:29], v4
	s_waitcnt lgkmcnt(0)
	v_add_u32_e32 v3, v29, v28
	v_mov_b32_e32 v2, v29
	ds_write_b64 v4, v[2:3]
	s_branch .LBB28_2
.LBB28_47:
	s_endpgm
	.section	.rodata,"a",@progbits
	.p2align	6, 0x0
	.amdhsa_kernel _Z4scanIiLi1024EEvlPT_PKS0_
		.amdhsa_group_segment_fixed_size 4096
		.amdhsa_private_segment_fixed_size 0
		.amdhsa_kernarg_size 280
		.amdhsa_user_sgpr_count 6
		.amdhsa_user_sgpr_private_segment_buffer 1
		.amdhsa_user_sgpr_dispatch_ptr 0
		.amdhsa_user_sgpr_queue_ptr 0
		.amdhsa_user_sgpr_kernarg_segment_ptr 1
		.amdhsa_user_sgpr_dispatch_id 0
		.amdhsa_user_sgpr_flat_scratch_init 0
		.amdhsa_user_sgpr_private_segment_size 0
		.amdhsa_uses_dynamic_stack 0
		.amdhsa_system_sgpr_private_segment_wavefront_offset 0
		.amdhsa_system_sgpr_workgroup_id_x 1
		.amdhsa_system_sgpr_workgroup_id_y 0
		.amdhsa_system_sgpr_workgroup_id_z 0
		.amdhsa_system_sgpr_workgroup_info 0
		.amdhsa_system_vgpr_workitem_id 0
		.amdhsa_next_free_vgpr 30
		.amdhsa_next_free_sgpr 61
		.amdhsa_reserve_vcc 1
		.amdhsa_reserve_flat_scratch 0
		.amdhsa_float_round_mode_32 0
		.amdhsa_float_round_mode_16_64 0
		.amdhsa_float_denorm_mode_32 3
		.amdhsa_float_denorm_mode_16_64 3
		.amdhsa_dx10_clamp 1
		.amdhsa_ieee_mode 1
		.amdhsa_fp16_overflow 0
		.amdhsa_exception_fp_ieee_invalid_op 0
		.amdhsa_exception_fp_denorm_src 0
		.amdhsa_exception_fp_ieee_div_zero 0
		.amdhsa_exception_fp_ieee_overflow 0
		.amdhsa_exception_fp_ieee_underflow 0
		.amdhsa_exception_fp_ieee_inexact 0
		.amdhsa_exception_int_div_zero 0
	.end_amdhsa_kernel
	.section	.text._Z4scanIiLi1024EEvlPT_PKS0_,"axG",@progbits,_Z4scanIiLi1024EEvlPT_PKS0_,comdat
.Lfunc_end28:
	.size	_Z4scanIiLi1024EEvlPT_PKS0_, .Lfunc_end28-_Z4scanIiLi1024EEvlPT_PKS0_
                                        ; -- End function
	.set _Z4scanIiLi1024EEvlPT_PKS0_.num_vgpr, 30
	.set _Z4scanIiLi1024EEvlPT_PKS0_.num_agpr, 0
	.set _Z4scanIiLi1024EEvlPT_PKS0_.numbered_sgpr, 36
	.set _Z4scanIiLi1024EEvlPT_PKS0_.num_named_barrier, 0
	.set _Z4scanIiLi1024EEvlPT_PKS0_.private_seg_size, 0
	.set _Z4scanIiLi1024EEvlPT_PKS0_.uses_vcc, 1
	.set _Z4scanIiLi1024EEvlPT_PKS0_.uses_flat_scratch, 0
	.set _Z4scanIiLi1024EEvlPT_PKS0_.has_dyn_sized_stack, 0
	.set _Z4scanIiLi1024EEvlPT_PKS0_.has_recursion, 0
	.set _Z4scanIiLi1024EEvlPT_PKS0_.has_indirect_call, 0
	.section	.AMDGPU.csdata,"",@progbits
; Kernel info:
; codeLenInByte = 1592
; TotalNumSgprs: 40
; NumVgprs: 30
; ScratchSize: 0
; MemoryBound: 0
; FloatMode: 240
; IeeeMode: 1
; LDSByteSize: 4096 bytes/workgroup (compile time only)
; SGPRBlocks: 8
; VGPRBlocks: 7
; NumSGPRsForWavesPerEU: 65
; NumVGPRsForWavesPerEU: 30
; Occupancy: 8
; WaveLimiterHint : 0
; COMPUTE_PGM_RSRC2:SCRATCH_EN: 0
; COMPUTE_PGM_RSRC2:USER_SGPR: 6
; COMPUTE_PGM_RSRC2:TRAP_HANDLER: 0
; COMPUTE_PGM_RSRC2:TGID_X_EN: 1
; COMPUTE_PGM_RSRC2:TGID_Y_EN: 0
; COMPUTE_PGM_RSRC2:TGID_Z_EN: 0
; COMPUTE_PGM_RSRC2:TIDIG_COMP_CNT: 0
	.section	.text._Z9scan_bcaoIiLi1024EEvlPT_PKS0_,"axG",@progbits,_Z9scan_bcaoIiLi1024EEvlPT_PKS0_,comdat
	.protected	_Z9scan_bcaoIiLi1024EEvlPT_PKS0_ ; -- Begin function _Z9scan_bcaoIiLi1024EEvlPT_PKS0_
	.globl	_Z9scan_bcaoIiLi1024EEvlPT_PKS0_
	.p2align	8
	.type	_Z9scan_bcaoIiLi1024EEvlPT_PKS0_,@function
_Z9scan_bcaoIiLi1024EEvlPT_PKS0_:       ; @_Z9scan_bcaoIiLi1024EEvlPT_PKS0_
; %bb.0:
	s_load_dwordx2 s[28:29], s[4:5], 0x0
	s_mov_b32 s7, 0
	v_mov_b32_e32 v1, s6
	v_mov_b32_e32 v2, s7
	s_waitcnt lgkmcnt(0)
	v_cmp_le_i64_e32 vcc, s[28:29], v[1:2]
	s_cbranch_vccnz .LBB29_45
; %bb.1:
	v_lshlrev_b32_e32 v3, 1, v0
	v_or_b32_e32 v18, 1, v3
	v_add_u32_e32 v19, 2, v3
	v_lshlrev_b32_e32 v6, 1, v18
	v_lshlrev_b32_e32 v8, 1, v19
	v_add_u32_e32 v7, -1, v6
	v_add_u32_e32 v9, -1, v8
	v_lshrrev_b32_e32 v5, 3, v9
	v_add_u32_e32 v11, v7, v6
	v_lshrrev_b32_e32 v4, 3, v7
	v_lshlrev_b32_e32 v10, 2, v9
	v_and_b32_e32 v5, 0x1ffffffc, v5
	v_lshrrev_b32_e32 v6, 3, v11
	v_lshlrev_b32_e32 v12, 3, v19
	v_and_b32_e32 v4, 0x1fc, v4
	v_add_u32_e32 v5, v10, v5
	v_add_u32_e32 v8, v9, v8
	v_and_b32_e32 v6, 0x1ffffffc, v6
	v_add_u32_e32 v9, v10, v12
	v_lshl_add_u32 v10, v18, 2, v11
	v_lshl_add_u32 v4, v7, 2, v4
	;; [unrolled: 1-line block ×3, first 2 shown]
	v_lshrrev_b32_e32 v7, 3, v8
	v_lshl_add_u32 v11, v19, 2, v8
	v_lshrrev_b32_e32 v8, 3, v10
	v_and_b32_e32 v8, 0x1ffffffc, v8
	v_lshl_add_u32 v15, v18, 3, v10
	v_and_b32_e32 v7, 0x1ffffffc, v7
	v_lshl_add_u32 v8, v10, 2, v8
	v_lshlrev_b32_e32 v13, 4, v19
	v_lshrrev_b32_e32 v10, 3, v15
	v_add_u32_e32 v7, v9, v7
	v_add_u32_e32 v14, v9, v13
	v_lshrrev_b32_e32 v9, 3, v11
	v_add_u32_e32 v12, v11, v12
	v_and_b32_e32 v10, 0x1ffffffc, v10
	v_and_b32_e32 v9, 0x1ffffffc, v9
	v_lshl_add_u32 v10, v15, 2, v10
	v_lshlrev_b32_e32 v16, 5, v19
	v_lshl_add_u32 v15, v18, 4, v15
	v_add_u32_e32 v17, v12, v13
	s_load_dwordx4 s[24:27], s[4:5], 0x8
	s_load_dword s30, s[4:5], 0x18
	v_add_u32_e32 v9, v14, v9
	v_add_u32_e32 v14, v14, v16
	v_lshrrev_b32_e32 v11, 3, v12
	v_lshrrev_b32_e32 v12, 3, v15
	v_lshlrev_b32_e32 v22, 6, v19
	v_lshrrev_b32_e32 v13, 3, v17
	v_and_b32_e32 v11, 0x1ffffffc, v11
	v_and_b32_e32 v12, 0x1ffffffc, v12
	v_add_u32_e32 v23, v14, v22
	v_and_b32_e32 v13, 0x1ffffffc, v13
	v_lshl_add_u32 v24, v18, 5, v15
	v_add_u32_e32 v16, v17, v16
	v_lshlrev_b32_e32 v25, 7, v19
	v_add_u32_e32 v11, v14, v11
	v_lshl_add_u32 v12, v15, 2, v12
	v_add_u32_e32 v13, v23, v13
	v_lshrrev_b32_e32 v14, 3, v24
	v_add_u32_e32 v17, v23, v25
	v_lshrrev_b32_e32 v15, 3, v16
	v_lshl_add_u32 v23, v18, 6, v24
	v_and_b32_e32 v14, 0x1ffffffc, v14
	v_and_b32_e32 v15, 0x1ffffffc, v15
	v_add_u32_e32 v22, v16, v22
	v_lshrrev_b32_e32 v16, 3, v23
	v_add_u32_e32 v2, 0x200, v0
	s_mov_b32 s31, s7
	v_lshl_add_u32 v14, v24, 2, v14
	v_add_u32_e32 v15, v17, v15
	v_and_b32_e32 v16, 0x1ffffffc, v16
	v_lshl_add_u32 v24, v19, 8, v17
	v_lshrrev_b32_e32 v17, 3, v22
	v_lshl_add_u32 v18, v18, 7, v23
	v_add_u32_e32 v22, v22, v25
	v_lshrrev_b32_e32 v1, 3, v0
	v_lshrrev_b32_e32 v2, 3, v2
	;; [unrolled: 1-line block ×3, first 2 shown]
	v_lshl_add_u32 v16, v23, 2, v16
	v_lshrrev_b32_e32 v23, 3, v18
	v_lshrrev_b32_e32 v22, 3, v22
	s_lshl_b64 s[22:23], s[6:7], 12
	s_waitcnt lgkmcnt(0)
	s_lshl_b64 s[34:35], s[30:31], 12
	s_movk_i32 s2, 0x200
	v_lshlrev_b32_e32 v20, 2, v0
	v_and_b32_e32 v1, 0x7c, v1
	v_and_b32_e32 v2, 0xfc, v2
	;; [unrolled: 1-line block ×3, first 2 shown]
	s_movk_i32 s4, 0x100
	s_movk_i32 s8, 0x80
	v_and_b32_e32 v17, 0x1ffffffc, v17
	v_and_b32_e32 v23, 0x1ffffffc, v23
	v_lshlrev_b32_e32 v19, 9, v19
	v_and_b32_e32 v22, 0x1ffffffc, v22
	s_add_u32 s24, s24, 0x800
	v_add_u32_e32 v1, v20, v1
	v_add_u32_e32 v2, v20, v2
	v_cmp_eq_u32_e64 s[0:1], 0, v0
	v_cmp_gt_u32_e64 s[2:3], s2, v0
	v_add3_u32 v3, v20, v20, v21
	v_cmp_gt_u32_e64 s[4:5], s4, v0
	v_cmp_gt_u32_e64 s[8:9], s8, v0
	;; [unrolled: 1-line block ×7, first 2 shown]
	v_add_u32_e32 v17, v24, v17
	v_cmp_gt_u32_e64 s[20:21], 2, v0
	v_lshl_add_u32 v18, v18, 2, v23
	v_add3_u32 v19, v24, v19, v22
	v_lshl_add_u32 v0, v0, 3, v21
	v_or_b32_e32 v20, s22, v20
	v_mov_b32_e32 v21, s23
	s_addc_u32 s25, s25, 0
	v_mov_b32_e32 v22, s27
	v_mov_b32_e32 v23, 0
	s_branch .LBB29_3
.LBB29_2:                               ;   in Loop: Header=BB29_3 Depth=1
	s_or_b64 exec, exec, s[22:23]
	s_waitcnt lgkmcnt(0)
	s_barrier
	ds_read_b32 v26, v1
	ds_read_b32 v27, v2 offset:2048
	v_mov_b32_e32 v25, s25
	v_add_co_u32_e32 v24, vcc, s24, v20
	v_addc_co_u32_e32 v25, vcc, v25, v21, vcc
	s_waitcnt lgkmcnt(1)
	global_store_dword v[24:25], v26, off offset:-2048
	s_waitcnt lgkmcnt(0)
	global_store_dword v[24:25], v27, off
	s_add_u32 s6, s6, s30
	v_mov_b32_e32 v24, s28
	s_addc_u32 s7, s7, 0
	v_mov_b32_e32 v25, s29
	v_cmp_ge_i64_e32 vcc, s[6:7], v[24:25]
	v_mov_b32_e32 v26, s35
	v_add_co_u32_e64 v20, s[22:23], s34, v20
	v_addc_co_u32_e64 v21, s[22:23], v21, v26, s[22:23]
	s_cbranch_vccnz .LBB29_45
.LBB29_3:                               ; =>This Inner Loop Header: Depth=1
	v_add_co_u32_e32 v24, vcc, s26, v20
	v_addc_co_u32_e32 v25, vcc, v22, v21, vcc
	global_load_dword v26, v[24:25], off
	global_load_dword v27, v[24:25], off offset:2048
	s_waitcnt vmcnt(1)
	ds_write_b32 v1, v26
	s_waitcnt vmcnt(0)
	ds_write_b32 v2, v27 offset:2048
	s_waitcnt lgkmcnt(0)
	s_barrier
	s_and_saveexec_b64 s[22:23], s[2:3]
	s_cbranch_execz .LBB29_5
; %bb.4:                                ;   in Loop: Header=BB29_3 Depth=1
	ds_read2_b32 v[24:25], v3 offset1:1
	s_waitcnt lgkmcnt(0)
	v_add_u32_e32 v24, v25, v24
	ds_write_b32 v3, v24 offset:4
.LBB29_5:                               ;   in Loop: Header=BB29_3 Depth=1
	s_or_b64 exec, exec, s[22:23]
	s_waitcnt lgkmcnt(0)
	s_barrier
	s_and_saveexec_b64 s[22:23], s[4:5]
	s_cbranch_execz .LBB29_7
; %bb.6:                                ;   in Loop: Header=BB29_3 Depth=1
	ds_read_b32 v24, v4
	ds_read_b32 v25, v5
	s_waitcnt lgkmcnt(0)
	v_add_u32_e32 v24, v25, v24
	ds_write_b32 v5, v24
.LBB29_7:                               ;   in Loop: Header=BB29_3 Depth=1
	s_or_b64 exec, exec, s[22:23]
	s_waitcnt lgkmcnt(0)
	s_barrier
	s_and_saveexec_b64 s[22:23], s[8:9]
	s_cbranch_execz .LBB29_9
; %bb.8:                                ;   in Loop: Header=BB29_3 Depth=1
	ds_read_b32 v24, v6
	ds_read_b32 v25, v7
	s_waitcnt lgkmcnt(0)
	v_add_u32_e32 v24, v25, v24
	ds_write_b32 v7, v24
.LBB29_9:                               ;   in Loop: Header=BB29_3 Depth=1
	s_or_b64 exec, exec, s[22:23]
	s_waitcnt lgkmcnt(0)
	s_barrier
	s_and_saveexec_b64 s[22:23], s[10:11]
	s_cbranch_execz .LBB29_11
; %bb.10:                               ;   in Loop: Header=BB29_3 Depth=1
	ds_read_b32 v24, v8
	ds_read_b32 v25, v9
	s_waitcnt lgkmcnt(0)
	v_add_u32_e32 v24, v25, v24
	ds_write_b32 v9, v24
.LBB29_11:                              ;   in Loop: Header=BB29_3 Depth=1
	s_or_b64 exec, exec, s[22:23]
	s_waitcnt lgkmcnt(0)
	s_barrier
	s_and_saveexec_b64 s[22:23], s[12:13]
	s_cbranch_execz .LBB29_13
; %bb.12:                               ;   in Loop: Header=BB29_3 Depth=1
	ds_read_b32 v24, v10
	ds_read_b32 v25, v11
	s_waitcnt lgkmcnt(0)
	v_add_u32_e32 v24, v25, v24
	ds_write_b32 v11, v24
.LBB29_13:                              ;   in Loop: Header=BB29_3 Depth=1
	;; [unrolled: 12-line block ×6, first 2 shown]
	s_or_b64 exec, exec, s[22:23]
	s_waitcnt lgkmcnt(0)
	s_barrier
	s_and_saveexec_b64 s[22:23], s[0:1]
	s_cbranch_execz .LBB29_23
; %bb.22:                               ;   in Loop: Header=BB29_3 Depth=1
	ds_read_b32 v24, v23 offset:2104
	ds_read_b32 v25, v23 offset:4216
	s_waitcnt lgkmcnt(0)
	v_add_u32_e32 v24, v25, v24
	ds_write_b32 v23, v24 offset:4216
.LBB29_23:                              ;   in Loop: Header=BB29_3 Depth=1
	s_or_b64 exec, exec, s[22:23]
	s_and_saveexec_b64 s[22:23], s[0:1]
; %bb.24:                               ;   in Loop: Header=BB29_3 Depth=1
	ds_write_b32 v23, v23 offset:4216
; %bb.25:                               ;   in Loop: Header=BB29_3 Depth=1
	s_or_b64 exec, exec, s[22:23]
	s_waitcnt lgkmcnt(0)
	s_barrier
	s_and_saveexec_b64 s[22:23], s[0:1]
	s_cbranch_execz .LBB29_27
; %bb.26:                               ;   in Loop: Header=BB29_3 Depth=1
	ds_read_b32 v24, v23 offset:4216
	ds_read_b32 v25, v23 offset:2104
	s_waitcnt lgkmcnt(1)
	ds_write_b32 v23, v24 offset:2104
	s_waitcnt lgkmcnt(1)
	v_add_u32_e32 v24, v24, v25
	ds_write_b32 v23, v24 offset:4216
.LBB29_27:                              ;   in Loop: Header=BB29_3 Depth=1
	s_or_b64 exec, exec, s[22:23]
	s_waitcnt lgkmcnt(0)
	s_barrier
	s_and_saveexec_b64 s[22:23], s[20:21]
	s_cbranch_execz .LBB29_29
; %bb.28:                               ;   in Loop: Header=BB29_3 Depth=1
	ds_read_b32 v24, v19
	ds_read_b32 v25, v18
	s_waitcnt lgkmcnt(1)
	ds_write_b32 v18, v24
	s_waitcnt lgkmcnt(1)
	v_add_u32_e32 v24, v24, v25
	ds_write_b32 v19, v24
.LBB29_29:                              ;   in Loop: Header=BB29_3 Depth=1
	s_or_b64 exec, exec, s[22:23]
	s_waitcnt lgkmcnt(0)
	s_barrier
	s_and_saveexec_b64 s[22:23], s[18:19]
	s_cbranch_execz .LBB29_31
; %bb.30:                               ;   in Loop: Header=BB29_3 Depth=1
	ds_read_b32 v24, v17
	ds_read_b32 v25, v16
	s_waitcnt lgkmcnt(1)
	ds_write_b32 v16, v24
	s_waitcnt lgkmcnt(1)
	v_add_u32_e32 v24, v24, v25
	ds_write_b32 v17, v24
.LBB29_31:                              ;   in Loop: Header=BB29_3 Depth=1
	;; [unrolled: 14-line block ×8, first 2 shown]
	s_or_b64 exec, exec, s[22:23]
	s_waitcnt lgkmcnt(0)
	s_barrier
	s_and_saveexec_b64 s[22:23], s[2:3]
	s_cbranch_execz .LBB29_2
; %bb.44:                               ;   in Loop: Header=BB29_3 Depth=1
	ds_read2_b32 v[24:25], v0 offset1:1
	s_waitcnt lgkmcnt(0)
	v_add_u32_e32 v24, v25, v24
	ds_write2_b32 v0, v25, v24 offset1:1
	s_branch .LBB29_2
.LBB29_45:
	s_endpgm
	.section	.rodata,"a",@progbits
	.p2align	6, 0x0
	.amdhsa_kernel _Z9scan_bcaoIiLi1024EEvlPT_PKS0_
		.amdhsa_group_segment_fixed_size 8192
		.amdhsa_private_segment_fixed_size 0
		.amdhsa_kernarg_size 280
		.amdhsa_user_sgpr_count 6
		.amdhsa_user_sgpr_private_segment_buffer 1
		.amdhsa_user_sgpr_dispatch_ptr 0
		.amdhsa_user_sgpr_queue_ptr 0
		.amdhsa_user_sgpr_kernarg_segment_ptr 1
		.amdhsa_user_sgpr_dispatch_id 0
		.amdhsa_user_sgpr_flat_scratch_init 0
		.amdhsa_user_sgpr_private_segment_size 0
		.amdhsa_uses_dynamic_stack 0
		.amdhsa_system_sgpr_private_segment_wavefront_offset 0
		.amdhsa_system_sgpr_workgroup_id_x 1
		.amdhsa_system_sgpr_workgroup_id_y 0
		.amdhsa_system_sgpr_workgroup_id_z 0
		.amdhsa_system_sgpr_workgroup_info 0
		.amdhsa_system_vgpr_workitem_id 0
		.amdhsa_next_free_vgpr 29
		.amdhsa_next_free_sgpr 61
		.amdhsa_reserve_vcc 1
		.amdhsa_reserve_flat_scratch 0
		.amdhsa_float_round_mode_32 0
		.amdhsa_float_round_mode_16_64 0
		.amdhsa_float_denorm_mode_32 3
		.amdhsa_float_denorm_mode_16_64 3
		.amdhsa_dx10_clamp 1
		.amdhsa_ieee_mode 1
		.amdhsa_fp16_overflow 0
		.amdhsa_exception_fp_ieee_invalid_op 0
		.amdhsa_exception_fp_denorm_src 0
		.amdhsa_exception_fp_ieee_div_zero 0
		.amdhsa_exception_fp_ieee_overflow 0
		.amdhsa_exception_fp_ieee_underflow 0
		.amdhsa_exception_fp_ieee_inexact 0
		.amdhsa_exception_int_div_zero 0
	.end_amdhsa_kernel
	.section	.text._Z9scan_bcaoIiLi1024EEvlPT_PKS0_,"axG",@progbits,_Z9scan_bcaoIiLi1024EEvlPT_PKS0_,comdat
.Lfunc_end29:
	.size	_Z9scan_bcaoIiLi1024EEvlPT_PKS0_, .Lfunc_end29-_Z9scan_bcaoIiLi1024EEvlPT_PKS0_
                                        ; -- End function
	.set _Z9scan_bcaoIiLi1024EEvlPT_PKS0_.num_vgpr, 28
	.set _Z9scan_bcaoIiLi1024EEvlPT_PKS0_.num_agpr, 0
	.set _Z9scan_bcaoIiLi1024EEvlPT_PKS0_.numbered_sgpr, 36
	.set _Z9scan_bcaoIiLi1024EEvlPT_PKS0_.num_named_barrier, 0
	.set _Z9scan_bcaoIiLi1024EEvlPT_PKS0_.private_seg_size, 0
	.set _Z9scan_bcaoIiLi1024EEvlPT_PKS0_.uses_vcc, 1
	.set _Z9scan_bcaoIiLi1024EEvlPT_PKS0_.uses_flat_scratch, 0
	.set _Z9scan_bcaoIiLi1024EEvlPT_PKS0_.has_dyn_sized_stack, 0
	.set _Z9scan_bcaoIiLi1024EEvlPT_PKS0_.has_recursion, 0
	.set _Z9scan_bcaoIiLi1024EEvlPT_PKS0_.has_indirect_call, 0
	.section	.AMDGPU.csdata,"",@progbits
; Kernel info:
; codeLenInByte = 2028
; TotalNumSgprs: 40
; NumVgprs: 28
; ScratchSize: 0
; MemoryBound: 0
; FloatMode: 240
; IeeeMode: 1
; LDSByteSize: 8192 bytes/workgroup (compile time only)
; SGPRBlocks: 8
; VGPRBlocks: 7
; NumSGPRsForWavesPerEU: 65
; NumVGPRsForWavesPerEU: 29
; Occupancy: 8
; WaveLimiterHint : 1
; COMPUTE_PGM_RSRC2:SCRATCH_EN: 0
; COMPUTE_PGM_RSRC2:USER_SGPR: 6
; COMPUTE_PGM_RSRC2:TRAP_HANDLER: 0
; COMPUTE_PGM_RSRC2:TGID_X_EN: 1
; COMPUTE_PGM_RSRC2:TGID_Y_EN: 0
; COMPUTE_PGM_RSRC2:TGID_Z_EN: 0
; COMPUTE_PGM_RSRC2:TIDIG_COMP_CNT: 0
	.section	.text._Z4scanIlLi1024EEvlPT_PKS0_,"axG",@progbits,_Z4scanIlLi1024EEvlPT_PKS0_,comdat
	.protected	_Z4scanIlLi1024EEvlPT_PKS0_ ; -- Begin function _Z4scanIlLi1024EEvlPT_PKS0_
	.globl	_Z4scanIlLi1024EEvlPT_PKS0_
	.p2align	8
	.type	_Z4scanIlLi1024EEvlPT_PKS0_,@function
_Z4scanIlLi1024EEvlPT_PKS0_:            ; @_Z4scanIlLi1024EEvlPT_PKS0_
; %bb.0:
	s_load_dwordx2 s[28:29], s[4:5], 0x0
	s_mov_b32 s7, 0
	v_mov_b32_e32 v1, s6
	v_mov_b32_e32 v2, s7
	s_waitcnt lgkmcnt(0)
	v_cmp_le_i64_e32 vcc, s[28:29], v[1:2]
	s_cbranch_vccnz .LBB30_47
; %bb.1:
	v_lshlrev_b32_e32 v1, 1, v0
	v_or_b32_e32 v2, 1, v1
	v_add_u32_e32 v1, 2, v1
	v_lshlrev_b32_e32 v3, 4, v2
	v_lshlrev_b32_e32 v4, 4, v1
	s_load_dwordx4 s[24:27], s[4:5], 0x8
	s_load_dword s30, s[4:5], 0x18
	v_add_u32_e32 v7, -8, v3
	v_add_u32_e32 v8, -8, v4
	v_add_u32_e32 v9, v7, v3
	v_add_u32_e32 v10, v8, v4
	v_lshl_add_u32 v11, v2, 5, v9
	v_lshl_add_u32 v12, v1, 5, v10
	;; [unrolled: 1-line block ×4, first 2 shown]
	v_lshlrev_b32_e32 v6, 4, v0
	s_mov_b32 s31, s7
	s_movk_i32 s2, 0x200
	s_movk_i32 s4, 0x1ff
	;; [unrolled: 1-line block ×4, first 2 shown]
	v_lshl_add_u32 v15, v2, 7, v13
	v_lshl_add_u32 v16, v1, 7, v14
	s_lshl_b64 s[34:35], s[6:7], 13
	v_cmp_eq_u32_e64 s[0:1], 0, v0
	v_cmp_gt_u32_e64 s[2:3], s2, v0
	v_cmp_lt_u32_e64 s[4:5], s4, v0
	v_cmp_gt_u32_e64 s[8:9], s8, v0
	v_cmp_gt_u32_e64 s[10:11], s10, v0
	;; [unrolled: 1-line block ×6, first 2 shown]
	v_lshl_add_u32 v17, v2, 8, v15
	v_lshl_add_u32 v18, v1, 8, v16
	v_cmp_gt_u32_e64 s[20:21], 4, v0
	v_cmp_gt_u32_e64 s[22:23], 2, v0
	v_mov_b32_e32 v0, s35
	v_add_co_u32_e32 v23, vcc, s34, v6
	s_waitcnt lgkmcnt(0)
	s_lshl_b64 s[34:35], s[30:31], 13
	v_lshl_add_u32 v19, v2, 9, v17
	v_lshl_add_u32 v20, v1, 9, v18
	s_add_u32 s31, s24, 8
	v_lshl_add_u32 v21, v2, 10, v19
	v_lshl_add_u32 v22, v1, 10, v20
	v_mov_b32_e32 v4, 0
	v_addc_co_u32_e32 v24, vcc, 0, v0, vcc
	s_addc_u32 s33, s25, 0
	v_mov_b32_e32 v25, s27
	s_movk_i32 s27, 0x1f8
	s_branch .LBB30_3
.LBB30_2:                               ;   in Loop: Header=BB30_3 Depth=1
	s_or_b64 exec, exec, s[24:25]
	v_mov_b32_e32 v5, s33
	v_add_co_u32_e32 v26, vcc, s31, v23
	v_addc_co_u32_e32 v27, vcc, v5, v24, vcc
	s_waitcnt lgkmcnt(0)
	global_store_dwordx4 v[26:27], v[0:3], off offset:-8
	s_add_u32 s6, s6, s30
	v_mov_b32_e32 v0, s28
	s_addc_u32 s7, s7, 0
	v_mov_b32_e32 v1, s29
	v_cmp_ge_i64_e32 vcc, s[6:7], v[0:1]
	v_mov_b32_e32 v2, s35
	v_add_co_u32_e64 v23, s[24:25], s34, v23
	v_addc_co_u32_e64 v24, s[24:25], v24, v2, s[24:25]
	s_cbranch_vccnz .LBB30_47
.LBB30_3:                               ; =>This Inner Loop Header: Depth=1
	v_add_co_u32_e32 v0, vcc, s26, v23
	v_addc_co_u32_e32 v1, vcc, v25, v24, vcc
	global_load_dwordx4 v[0:3], v[0:1], off
	s_waitcnt vmcnt(0)
	ds_write_b128 v6, v[0:3]
	s_waitcnt lgkmcnt(0)
	s_barrier
	s_and_saveexec_b64 s[24:25], s[2:3]
	s_cbranch_execz .LBB30_5
; %bb.4:                                ;   in Loop: Header=BB30_3 Depth=1
	ds_read_b128 v[0:3], v6
	s_waitcnt lgkmcnt(0)
	v_add_co_u32_e32 v0, vcc, v2, v0
	v_addc_co_u32_e32 v1, vcc, v3, v1, vcc
	ds_write_b64 v6, v[0:1] offset:8
.LBB30_5:                               ;   in Loop: Header=BB30_3 Depth=1
	s_or_b64 exec, exec, s[24:25]
	s_waitcnt lgkmcnt(0)
	s_barrier
	s_and_saveexec_b64 s[24:25], s[8:9]
	s_cbranch_execz .LBB30_7
; %bb.6:                                ;   in Loop: Header=BB30_3 Depth=1
	ds_read_b64 v[0:1], v7
	ds_read_b64 v[2:3], v8
	s_waitcnt lgkmcnt(0)
	v_add_co_u32_e32 v0, vcc, v2, v0
	v_addc_co_u32_e32 v1, vcc, v3, v1, vcc
	ds_write_b64 v8, v[0:1]
.LBB30_7:                               ;   in Loop: Header=BB30_3 Depth=1
	s_or_b64 exec, exec, s[24:25]
	s_waitcnt lgkmcnt(0)
	s_barrier
	s_and_saveexec_b64 s[24:25], s[10:11]
	s_cbranch_execz .LBB30_9
; %bb.8:                                ;   in Loop: Header=BB30_3 Depth=1
	ds_read_b64 v[0:1], v9
	ds_read_b64 v[2:3], v10
	s_waitcnt lgkmcnt(0)
	v_add_co_u32_e32 v0, vcc, v2, v0
	v_addc_co_u32_e32 v1, vcc, v3, v1, vcc
	ds_write_b64 v10, v[0:1]
.LBB30_9:                               ;   in Loop: Header=BB30_3 Depth=1
	s_or_b64 exec, exec, s[24:25]
	s_waitcnt lgkmcnt(0)
	s_barrier
	s_and_saveexec_b64 s[24:25], s[12:13]
	s_cbranch_execz .LBB30_11
; %bb.10:                               ;   in Loop: Header=BB30_3 Depth=1
	ds_read_b64 v[0:1], v11
	ds_read_b64 v[2:3], v12
	s_waitcnt lgkmcnt(0)
	v_add_co_u32_e32 v0, vcc, v2, v0
	v_addc_co_u32_e32 v1, vcc, v3, v1, vcc
	ds_write_b64 v12, v[0:1]
.LBB30_11:                              ;   in Loop: Header=BB30_3 Depth=1
	s_or_b64 exec, exec, s[24:25]
	s_waitcnt lgkmcnt(0)
	s_barrier
	s_and_saveexec_b64 s[24:25], s[14:15]
	s_cbranch_execz .LBB30_13
; %bb.12:                               ;   in Loop: Header=BB30_3 Depth=1
	ds_read_b64 v[0:1], v13
	ds_read_b64 v[2:3], v14
	s_waitcnt lgkmcnt(0)
	v_add_co_u32_e32 v0, vcc, v2, v0
	v_addc_co_u32_e32 v1, vcc, v3, v1, vcc
	ds_write_b64 v14, v[0:1]
.LBB30_13:                              ;   in Loop: Header=BB30_3 Depth=1
	;; [unrolled: 13-line block ×6, first 2 shown]
	s_or_b64 exec, exec, s[24:25]
	v_add_u32_e64 v0, s27, 0
	s_waitcnt lgkmcnt(0)
	s_barrier
	s_and_saveexec_b64 s[24:25], s[0:1]
	s_cbranch_execz .LBB30_23
; %bb.22:                               ;   in Loop: Header=BB30_3 Depth=1
	ds_read2st64_b64 v[26:29], v0 offset0:7 offset1:15
	s_waitcnt lgkmcnt(0)
	v_add_co_u32_e32 v1, vcc, v28, v26
	v_addc_co_u32_e32 v2, vcc, v29, v27, vcc
	ds_write_b64 v4, v[1:2] offset:8184
.LBB30_23:                              ;   in Loop: Header=BB30_3 Depth=1
	s_or_b64 exec, exec, s[24:25]
	s_and_saveexec_b64 s[24:25], s[0:1]
; %bb.24:                               ;   in Loop: Header=BB30_3 Depth=1
	v_mov_b32_e32 v5, v4
	ds_write_b64 v4, v[4:5] offset:8184
; %bb.25:                               ;   in Loop: Header=BB30_3 Depth=1
	s_or_b64 exec, exec, s[24:25]
	s_waitcnt lgkmcnt(0)
	s_barrier
	s_and_saveexec_b64 s[24:25], s[0:1]
	s_cbranch_execz .LBB30_27
; %bb.26:                               ;   in Loop: Header=BB30_3 Depth=1
	ds_read2st64_b64 v[26:29], v0 offset0:7 offset1:15
	s_waitcnt lgkmcnt(0)
	v_add_co_u32_e32 v1, vcc, v28, v26
	v_addc_co_u32_e32 v2, vcc, v29, v27, vcc
	ds_write2st64_b64 v0, v[28:29], v[1:2] offset0:7 offset1:15
.LBB30_27:                              ;   in Loop: Header=BB30_3 Depth=1
	s_or_b64 exec, exec, s[24:25]
	s_waitcnt lgkmcnt(0)
	s_barrier
	s_and_saveexec_b64 s[24:25], s[22:23]
	s_cbranch_execz .LBB30_29
; %bb.28:                               ;   in Loop: Header=BB30_3 Depth=1
	ds_read_b64 v[0:1], v22
	ds_read_b64 v[2:3], v21
	s_waitcnt lgkmcnt(1)
	ds_write_b64 v21, v[0:1]
	s_waitcnt lgkmcnt(1)
	v_add_co_u32_e32 v0, vcc, v0, v2
	v_addc_co_u32_e32 v1, vcc, v1, v3, vcc
	ds_write_b64 v22, v[0:1]
.LBB30_29:                              ;   in Loop: Header=BB30_3 Depth=1
	s_or_b64 exec, exec, s[24:25]
	s_waitcnt lgkmcnt(0)
	s_barrier
	s_and_saveexec_b64 s[24:25], s[20:21]
	s_cbranch_execz .LBB30_31
; %bb.30:                               ;   in Loop: Header=BB30_3 Depth=1
	ds_read_b64 v[0:1], v20
	ds_read_b64 v[2:3], v19
	s_waitcnt lgkmcnt(1)
	ds_write_b64 v19, v[0:1]
	s_waitcnt lgkmcnt(1)
	v_add_co_u32_e32 v0, vcc, v0, v2
	v_addc_co_u32_e32 v1, vcc, v1, v3, vcc
	ds_write_b64 v20, v[0:1]
.LBB30_31:                              ;   in Loop: Header=BB30_3 Depth=1
	;; [unrolled: 15-line block ×8, first 2 shown]
	s_or_b64 exec, exec, s[24:25]
	s_waitcnt lgkmcnt(0)
	s_barrier
                                        ; implicit-def: $vgpr0_vgpr1
	s_and_saveexec_b64 s[24:25], s[4:5]
	s_xor_b64 s[24:25], exec, s[24:25]
; %bb.44:                               ;   in Loop: Header=BB30_3 Depth=1
	ds_read_b128 v[0:3], v6
; %bb.45:                               ;   in Loop: Header=BB30_3 Depth=1
	s_andn2_saveexec_b64 s[24:25], s[24:25]
	s_cbranch_execz .LBB30_2
; %bb.46:                               ;   in Loop: Header=BB30_3 Depth=1
	ds_read_b128 v[26:29], v6
	s_waitcnt lgkmcnt(0)
	v_add_co_u32_e32 v2, vcc, v28, v26
	v_addc_co_u32_e32 v3, vcc, v29, v27, vcc
	v_mov_b32_e32 v0, v28
	v_mov_b32_e32 v1, v29
	ds_write_b128 v6, v[0:3]
	v_mov_b32_e32 v0, v28
	v_mov_b32_e32 v1, v29
	s_branch .LBB30_2
.LBB30_47:
	s_endpgm
	.section	.rodata,"a",@progbits
	.p2align	6, 0x0
	.amdhsa_kernel _Z4scanIlLi1024EEvlPT_PKS0_
		.amdhsa_group_segment_fixed_size 8192
		.amdhsa_private_segment_fixed_size 0
		.amdhsa_kernarg_size 280
		.amdhsa_user_sgpr_count 6
		.amdhsa_user_sgpr_private_segment_buffer 1
		.amdhsa_user_sgpr_dispatch_ptr 0
		.amdhsa_user_sgpr_queue_ptr 0
		.amdhsa_user_sgpr_kernarg_segment_ptr 1
		.amdhsa_user_sgpr_dispatch_id 0
		.amdhsa_user_sgpr_flat_scratch_init 0
		.amdhsa_user_sgpr_private_segment_size 0
		.amdhsa_uses_dynamic_stack 0
		.amdhsa_system_sgpr_private_segment_wavefront_offset 0
		.amdhsa_system_sgpr_workgroup_id_x 1
		.amdhsa_system_sgpr_workgroup_id_y 0
		.amdhsa_system_sgpr_workgroup_id_z 0
		.amdhsa_system_sgpr_workgroup_info 0
		.amdhsa_system_vgpr_workitem_id 0
		.amdhsa_next_free_vgpr 30
		.amdhsa_next_free_sgpr 61
		.amdhsa_reserve_vcc 1
		.amdhsa_reserve_flat_scratch 0
		.amdhsa_float_round_mode_32 0
		.amdhsa_float_round_mode_16_64 0
		.amdhsa_float_denorm_mode_32 3
		.amdhsa_float_denorm_mode_16_64 3
		.amdhsa_dx10_clamp 1
		.amdhsa_ieee_mode 1
		.amdhsa_fp16_overflow 0
		.amdhsa_exception_fp_ieee_invalid_op 0
		.amdhsa_exception_fp_denorm_src 0
		.amdhsa_exception_fp_ieee_div_zero 0
		.amdhsa_exception_fp_ieee_overflow 0
		.amdhsa_exception_fp_ieee_underflow 0
		.amdhsa_exception_fp_ieee_inexact 0
		.amdhsa_exception_int_div_zero 0
	.end_amdhsa_kernel
	.section	.text._Z4scanIlLi1024EEvlPT_PKS0_,"axG",@progbits,_Z4scanIlLi1024EEvlPT_PKS0_,comdat
.Lfunc_end30:
	.size	_Z4scanIlLi1024EEvlPT_PKS0_, .Lfunc_end30-_Z4scanIlLi1024EEvlPT_PKS0_
                                        ; -- End function
	.set _Z4scanIlLi1024EEvlPT_PKS0_.num_vgpr, 30
	.set _Z4scanIlLi1024EEvlPT_PKS0_.num_agpr, 0
	.set _Z4scanIlLi1024EEvlPT_PKS0_.numbered_sgpr, 36
	.set _Z4scanIlLi1024EEvlPT_PKS0_.num_named_barrier, 0
	.set _Z4scanIlLi1024EEvlPT_PKS0_.private_seg_size, 0
	.set _Z4scanIlLi1024EEvlPT_PKS0_.uses_vcc, 1
	.set _Z4scanIlLi1024EEvlPT_PKS0_.uses_flat_scratch, 0
	.set _Z4scanIlLi1024EEvlPT_PKS0_.has_dyn_sized_stack, 0
	.set _Z4scanIlLi1024EEvlPT_PKS0_.has_recursion, 0
	.set _Z4scanIlLi1024EEvlPT_PKS0_.has_indirect_call, 0
	.section	.AMDGPU.csdata,"",@progbits
; Kernel info:
; codeLenInByte = 1688
; TotalNumSgprs: 40
; NumVgprs: 30
; ScratchSize: 0
; MemoryBound: 0
; FloatMode: 240
; IeeeMode: 1
; LDSByteSize: 8192 bytes/workgroup (compile time only)
; SGPRBlocks: 8
; VGPRBlocks: 7
; NumSGPRsForWavesPerEU: 65
; NumVGPRsForWavesPerEU: 30
; Occupancy: 8
; WaveLimiterHint : 0
; COMPUTE_PGM_RSRC2:SCRATCH_EN: 0
; COMPUTE_PGM_RSRC2:USER_SGPR: 6
; COMPUTE_PGM_RSRC2:TRAP_HANDLER: 0
; COMPUTE_PGM_RSRC2:TGID_X_EN: 1
; COMPUTE_PGM_RSRC2:TGID_Y_EN: 0
; COMPUTE_PGM_RSRC2:TGID_Z_EN: 0
; COMPUTE_PGM_RSRC2:TIDIG_COMP_CNT: 0
	.section	.text._Z9scan_bcaoIlLi1024EEvlPT_PKS0_,"axG",@progbits,_Z9scan_bcaoIlLi1024EEvlPT_PKS0_,comdat
	.protected	_Z9scan_bcaoIlLi1024EEvlPT_PKS0_ ; -- Begin function _Z9scan_bcaoIlLi1024EEvlPT_PKS0_
	.globl	_Z9scan_bcaoIlLi1024EEvlPT_PKS0_
	.p2align	8
	.type	_Z9scan_bcaoIlLi1024EEvlPT_PKS0_,@function
_Z9scan_bcaoIlLi1024EEvlPT_PKS0_:       ; @_Z9scan_bcaoIlLi1024EEvlPT_PKS0_
; %bb.0:
	s_load_dwordx2 s[28:29], s[4:5], 0x0
	s_mov_b32 s7, 0
	v_mov_b32_e32 v1, s6
	v_mov_b32_e32 v2, s7
	s_waitcnt lgkmcnt(0)
	v_cmp_le_i64_e32 vcc, s[28:29], v[1:2]
	s_cbranch_vccnz .LBB31_45
; %bb.1:
	v_add_u32_e32 v1, 0x200, v0
	v_lshrrev_b32_e32 v1, 2, v1
	v_lshlrev_b32_e32 v22, 3, v0
	v_and_b32_e32 v1, 0x1f8, v1
	v_add_u32_e32 v3, v22, v1
	v_lshlrev_b32_e32 v1, 1, v0
	v_or_b32_e32 v19, 1, v1
	v_add_u32_e32 v1, 2, v1
	v_lshlrev_b32_e32 v7, 1, v19
	v_lshlrev_b32_e32 v9, 1, v1
	v_add_u32_e32 v8, -1, v7
	v_add_u32_e32 v10, -1, v9
	v_lshrrev_b32_e32 v6, 2, v10
	v_add_u32_e32 v12, v8, v7
	v_lshrrev_b32_e32 v5, 2, v8
	v_lshlrev_b32_e32 v11, 3, v10
	v_and_b32_e32 v6, 0x3ffffff8, v6
	v_lshrrev_b32_e32 v7, 2, v12
	v_lshlrev_b32_e32 v13, 4, v1
	v_and_b32_e32 v5, 0x3f8, v5
	v_add_u32_e32 v6, v11, v6
	v_add_u32_e32 v9, v10, v9
	v_and_b32_e32 v7, 0x3ffffff8, v7
	v_add_u32_e32 v10, v11, v13
	v_lshl_add_u32 v11, v19, 2, v12
	v_lshl_add_u32 v5, v8, 3, v5
	;; [unrolled: 1-line block ×3, first 2 shown]
	v_lshrrev_b32_e32 v8, 2, v9
	v_lshl_add_u32 v12, v1, 2, v9
	v_lshrrev_b32_e32 v9, 2, v11
	v_and_b32_e32 v9, 0x3ffffff8, v9
	v_lshl_add_u32 v16, v19, 3, v11
	v_and_b32_e32 v8, 0x3ffffff8, v8
	v_lshl_add_u32 v9, v11, 3, v9
	v_lshlrev_b32_e32 v15, 5, v1
	v_lshrrev_b32_e32 v11, 2, v16
	v_add_u32_e32 v8, v10, v8
	v_add_u32_e32 v14, v10, v15
	v_lshrrev_b32_e32 v10, 2, v12
	v_lshl_add_u32 v17, v1, 3, v12
	v_and_b32_e32 v11, 0x3ffffff8, v11
	v_and_b32_e32 v10, 0x3ffffff8, v10
	v_lshl_add_u32 v11, v16, 3, v11
	v_lshlrev_b32_e32 v18, 6, v1
	v_lshrrev_b32_e32 v12, 2, v17
	v_lshl_add_u32 v16, v19, 4, v16
	v_add_u32_e32 v10, v14, v10
	v_add_u32_e32 v14, v14, v18
	v_and_b32_e32 v12, 0x3ffffff8, v12
	v_add_u32_e32 v17, v17, v13
	v_lshlrev_b32_e32 v20, 7, v1
	v_lshl_add_u32 v24, v19, 5, v16
	v_add_u32_e32 v12, v14, v12
	v_add_u32_e32 v23, v14, v20
	v_lshrrev_b32_e32 v14, 2, v17
	v_add_u32_e32 v17, v17, v15
	v_lshrrev_b32_e32 v15, 2, v24
	v_lshrrev_b32_e32 v13, 2, v16
	v_and_b32_e32 v15, 0x3ffffff8, v15
	s_load_dwordx4 s[24:27], s[4:5], 0x8
	s_load_dword s30, s[4:5], 0x18
	v_and_b32_e32 v13, 0x3ffffff8, v13
	v_lshl_add_u32 v15, v24, 3, v15
	v_lshl_add_u32 v24, v19, 6, v24
	;; [unrolled: 1-line block ×3, first 2 shown]
	v_lshrrev_b32_e32 v16, 2, v17
	v_add_u32_e32 v25, v17, v18
	v_lshrrev_b32_e32 v17, 2, v24
	v_and_b32_e32 v14, 0x3ffffff8, v14
	v_and_b32_e32 v17, 0x3ffffff8, v17
	v_lshl_add_u32 v19, v19, 7, v24
	v_add_u32_e32 v20, v25, v20
	v_lshrrev_b32_e32 v2, 2, v0
	v_lshrrev_b32_e32 v4, 1, v0
	v_add_u32_e32 v14, v23, v14
	v_lshl_add_u32 v23, v1, 8, v23
	v_and_b32_e32 v16, 0x3ffffff8, v16
	v_lshl_add_u32 v17, v24, 3, v17
	v_lshrrev_b32_e32 v18, 2, v25
	v_lshrrev_b32_e32 v24, 2, v19
	;; [unrolled: 1-line block ×3, first 2 shown]
	s_movk_i32 s2, 0x200
	v_and_b32_e32 v2, 0xf8, v2
	s_mov_b32 s31, s7
	v_and_b32_e32 v21, 0x1f8, v4
	s_movk_i32 s4, 0x100
	s_movk_i32 s8, 0x80
	v_add_u32_e32 v16, v23, v16
	v_lshl_add_u32 v23, v1, 9, v23
	v_and_b32_e32 v18, 0x3ffffff8, v18
	v_and_b32_e32 v24, 0x3ffffff8, v24
	v_lshlrev_b32_e32 v1, 10, v1
	v_and_b32_e32 v20, 0x3ffffff8, v20
	s_lshl_b64 s[22:23], s[6:7], 13
	v_add_u32_e32 v2, v22, v2
	v_cmp_eq_u32_e64 s[0:1], 0, v0
	v_cmp_gt_u32_e64 s[2:3], s2, v0
	v_add3_u32 v4, v22, v22, v21
	v_cmp_gt_u32_e64 s[4:5], s4, v0
	v_cmp_gt_u32_e64 s[8:9], s8, v0
	;; [unrolled: 1-line block ×7, first 2 shown]
	v_add_u32_e32 v18, v23, v18
	v_cmp_gt_u32_e64 s[20:21], 2, v0
	v_lshl_add_u32 v19, v19, 3, v24
	v_add3_u32 v20, v23, v1, v20
	v_lshl_add_u32 v21, v0, 4, v21
	v_or_b32_e32 v22, s22, v22
	v_mov_b32_e32 v23, s23
	s_waitcnt lgkmcnt(0)
	s_lshl_b64 s[34:35], s[30:31], 13
	v_mov_b32_e32 v24, s27
	v_mov_b32_e32 v0, 0
	s_branch .LBB31_3
.LBB31_2:                               ;   in Loop: Header=BB31_3 Depth=1
	s_or_b64 exec, exec, s[22:23]
	s_waitcnt lgkmcnt(0)
	s_barrier
	ds_read_b64 v[25:26], v2
	ds_read_b64 v[29:30], v3 offset:4096
	v_mov_b32_e32 v1, s25
	v_add_co_u32_e32 v27, vcc, s24, v22
	v_addc_co_u32_e32 v28, vcc, v1, v23, vcc
	s_waitcnt lgkmcnt(1)
	global_store_dwordx2 v[27:28], v[25:26], off
	v_add_co_u32_e32 v25, vcc, 0x1000, v27
	v_addc_co_u32_e32 v26, vcc, 0, v28, vcc
	s_waitcnt lgkmcnt(0)
	global_store_dwordx2 v[25:26], v[29:30], off
	s_add_u32 s6, s6, s30
	v_mov_b32_e32 v25, s28
	s_addc_u32 s7, s7, 0
	v_mov_b32_e32 v26, s29
	v_cmp_ge_i64_e32 vcc, s[6:7], v[25:26]
	v_mov_b32_e32 v1, s35
	v_add_co_u32_e64 v22, s[22:23], s34, v22
	v_addc_co_u32_e64 v23, s[22:23], v23, v1, s[22:23]
	s_cbranch_vccnz .LBB31_45
.LBB31_3:                               ; =>This Inner Loop Header: Depth=1
	v_add_co_u32_e32 v25, vcc, s26, v22
	v_addc_co_u32_e32 v26, vcc, v24, v23, vcc
	v_add_co_u32_e32 v27, vcc, 0x1000, v25
	v_addc_co_u32_e32 v28, vcc, 0, v26, vcc
	global_load_dwordx2 v[29:30], v[25:26], off
	global_load_dwordx2 v[31:32], v[27:28], off
	s_waitcnt vmcnt(1)
	ds_write_b64 v2, v[29:30]
	s_waitcnt vmcnt(0)
	ds_write_b64 v3, v[31:32] offset:4096
	s_waitcnt lgkmcnt(0)
	s_barrier
	s_and_saveexec_b64 s[22:23], s[2:3]
	s_cbranch_execz .LBB31_5
; %bb.4:                                ;   in Loop: Header=BB31_3 Depth=1
	ds_read2_b64 v[25:28], v4 offset1:1
	s_waitcnt lgkmcnt(0)
	v_add_co_u32_e32 v25, vcc, v27, v25
	v_addc_co_u32_e32 v26, vcc, v28, v26, vcc
	ds_write_b64 v4, v[25:26] offset:8
.LBB31_5:                               ;   in Loop: Header=BB31_3 Depth=1
	s_or_b64 exec, exec, s[22:23]
	s_waitcnt lgkmcnt(0)
	s_barrier
	s_and_saveexec_b64 s[22:23], s[4:5]
	s_cbranch_execz .LBB31_7
; %bb.6:                                ;   in Loop: Header=BB31_3 Depth=1
	ds_read_b64 v[25:26], v5
	ds_read_b64 v[27:28], v6
	s_waitcnt lgkmcnt(0)
	v_add_co_u32_e32 v25, vcc, v27, v25
	v_addc_co_u32_e32 v26, vcc, v28, v26, vcc
	ds_write_b64 v6, v[25:26]
.LBB31_7:                               ;   in Loop: Header=BB31_3 Depth=1
	s_or_b64 exec, exec, s[22:23]
	s_waitcnt lgkmcnt(0)
	s_barrier
	s_and_saveexec_b64 s[22:23], s[8:9]
	s_cbranch_execz .LBB31_9
; %bb.8:                                ;   in Loop: Header=BB31_3 Depth=1
	ds_read_b64 v[25:26], v7
	ds_read_b64 v[27:28], v8
	s_waitcnt lgkmcnt(0)
	v_add_co_u32_e32 v25, vcc, v27, v25
	v_addc_co_u32_e32 v26, vcc, v28, v26, vcc
	ds_write_b64 v8, v[25:26]
.LBB31_9:                               ;   in Loop: Header=BB31_3 Depth=1
	s_or_b64 exec, exec, s[22:23]
	s_waitcnt lgkmcnt(0)
	s_barrier
	s_and_saveexec_b64 s[22:23], s[10:11]
	s_cbranch_execz .LBB31_11
; %bb.10:                               ;   in Loop: Header=BB31_3 Depth=1
	ds_read_b64 v[25:26], v9
	ds_read_b64 v[27:28], v10
	s_waitcnt lgkmcnt(0)
	v_add_co_u32_e32 v25, vcc, v27, v25
	v_addc_co_u32_e32 v26, vcc, v28, v26, vcc
	ds_write_b64 v10, v[25:26]
.LBB31_11:                              ;   in Loop: Header=BB31_3 Depth=1
	s_or_b64 exec, exec, s[22:23]
	s_waitcnt lgkmcnt(0)
	s_barrier
	s_and_saveexec_b64 s[22:23], s[12:13]
	s_cbranch_execz .LBB31_13
; %bb.12:                               ;   in Loop: Header=BB31_3 Depth=1
	ds_read_b64 v[25:26], v11
	ds_read_b64 v[27:28], v12
	s_waitcnt lgkmcnt(0)
	v_add_co_u32_e32 v25, vcc, v27, v25
	v_addc_co_u32_e32 v26, vcc, v28, v26, vcc
	ds_write_b64 v12, v[25:26]
.LBB31_13:                              ;   in Loop: Header=BB31_3 Depth=1
	;; [unrolled: 13-line block ×6, first 2 shown]
	s_or_b64 exec, exec, s[22:23]
	s_waitcnt lgkmcnt(0)
	s_barrier
	s_and_saveexec_b64 s[22:23], s[0:1]
	s_cbranch_execz .LBB31_23
; %bb.22:                               ;   in Loop: Header=BB31_3 Depth=1
	ds_read_b64 v[25:26], v0 offset:4208
	ds_read_b64 v[27:28], v0 offset:8432
	s_waitcnt lgkmcnt(0)
	v_add_co_u32_e32 v25, vcc, v27, v25
	v_addc_co_u32_e32 v26, vcc, v28, v26, vcc
	ds_write_b64 v0, v[25:26] offset:8432
.LBB31_23:                              ;   in Loop: Header=BB31_3 Depth=1
	s_or_b64 exec, exec, s[22:23]
	s_and_saveexec_b64 s[22:23], s[0:1]
; %bb.24:                               ;   in Loop: Header=BB31_3 Depth=1
	v_mov_b32_e32 v1, v0
	ds_write_b64 v0, v[0:1] offset:8432
; %bb.25:                               ;   in Loop: Header=BB31_3 Depth=1
	s_or_b64 exec, exec, s[22:23]
	s_waitcnt lgkmcnt(0)
	s_barrier
	s_and_saveexec_b64 s[22:23], s[0:1]
	s_cbranch_execz .LBB31_27
; %bb.26:                               ;   in Loop: Header=BB31_3 Depth=1
	ds_read_b64 v[25:26], v0 offset:8432
	ds_read_b64 v[27:28], v0 offset:4208
	s_waitcnt lgkmcnt(1)
	ds_write_b64 v0, v[25:26] offset:4208
	s_waitcnt lgkmcnt(1)
	v_add_co_u32_e32 v25, vcc, v25, v27
	v_addc_co_u32_e32 v26, vcc, v26, v28, vcc
	ds_write_b64 v0, v[25:26] offset:8432
.LBB31_27:                              ;   in Loop: Header=BB31_3 Depth=1
	s_or_b64 exec, exec, s[22:23]
	s_waitcnt lgkmcnt(0)
	s_barrier
	s_and_saveexec_b64 s[22:23], s[20:21]
	s_cbranch_execz .LBB31_29
; %bb.28:                               ;   in Loop: Header=BB31_3 Depth=1
	ds_read_b64 v[25:26], v20
	ds_read_b64 v[27:28], v19
	s_waitcnt lgkmcnt(1)
	ds_write_b64 v19, v[25:26]
	s_waitcnt lgkmcnt(1)
	v_add_co_u32_e32 v25, vcc, v25, v27
	v_addc_co_u32_e32 v26, vcc, v26, v28, vcc
	ds_write_b64 v20, v[25:26]
.LBB31_29:                              ;   in Loop: Header=BB31_3 Depth=1
	s_or_b64 exec, exec, s[22:23]
	s_waitcnt lgkmcnt(0)
	s_barrier
	s_and_saveexec_b64 s[22:23], s[18:19]
	s_cbranch_execz .LBB31_31
; %bb.30:                               ;   in Loop: Header=BB31_3 Depth=1
	ds_read_b64 v[25:26], v18
	ds_read_b64 v[27:28], v17
	s_waitcnt lgkmcnt(1)
	ds_write_b64 v17, v[25:26]
	s_waitcnt lgkmcnt(1)
	v_add_co_u32_e32 v25, vcc, v25, v27
	v_addc_co_u32_e32 v26, vcc, v26, v28, vcc
	ds_write_b64 v18, v[25:26]
.LBB31_31:                              ;   in Loop: Header=BB31_3 Depth=1
	;; [unrolled: 15-line block ×8, first 2 shown]
	s_or_b64 exec, exec, s[22:23]
	s_waitcnt lgkmcnt(0)
	s_barrier
	s_and_saveexec_b64 s[22:23], s[2:3]
	s_cbranch_execz .LBB31_2
; %bb.44:                               ;   in Loop: Header=BB31_3 Depth=1
	ds_read2_b64 v[25:28], v21 offset1:1
	s_waitcnt lgkmcnt(0)
	v_add_co_u32_e32 v25, vcc, v27, v25
	v_addc_co_u32_e32 v26, vcc, v28, v26, vcc
	ds_write2_b64 v21, v[27:28], v[25:26] offset1:1
	s_branch .LBB31_2
.LBB31_45:
	s_endpgm
	.section	.rodata,"a",@progbits
	.p2align	6, 0x0
	.amdhsa_kernel _Z9scan_bcaoIlLi1024EEvlPT_PKS0_
		.amdhsa_group_segment_fixed_size 16384
		.amdhsa_private_segment_fixed_size 0
		.amdhsa_kernarg_size 280
		.amdhsa_user_sgpr_count 6
		.amdhsa_user_sgpr_private_segment_buffer 1
		.amdhsa_user_sgpr_dispatch_ptr 0
		.amdhsa_user_sgpr_queue_ptr 0
		.amdhsa_user_sgpr_kernarg_segment_ptr 1
		.amdhsa_user_sgpr_dispatch_id 0
		.amdhsa_user_sgpr_flat_scratch_init 0
		.amdhsa_user_sgpr_private_segment_size 0
		.amdhsa_uses_dynamic_stack 0
		.amdhsa_system_sgpr_private_segment_wavefront_offset 0
		.amdhsa_system_sgpr_workgroup_id_x 1
		.amdhsa_system_sgpr_workgroup_id_y 0
		.amdhsa_system_sgpr_workgroup_id_z 0
		.amdhsa_system_sgpr_workgroup_info 0
		.amdhsa_system_vgpr_workitem_id 0
		.amdhsa_next_free_vgpr 33
		.amdhsa_next_free_sgpr 61
		.amdhsa_reserve_vcc 1
		.amdhsa_reserve_flat_scratch 0
		.amdhsa_float_round_mode_32 0
		.amdhsa_float_round_mode_16_64 0
		.amdhsa_float_denorm_mode_32 3
		.amdhsa_float_denorm_mode_16_64 3
		.amdhsa_dx10_clamp 1
		.amdhsa_ieee_mode 1
		.amdhsa_fp16_overflow 0
		.amdhsa_exception_fp_ieee_invalid_op 0
		.amdhsa_exception_fp_denorm_src 0
		.amdhsa_exception_fp_ieee_div_zero 0
		.amdhsa_exception_fp_ieee_overflow 0
		.amdhsa_exception_fp_ieee_underflow 0
		.amdhsa_exception_fp_ieee_inexact 0
		.amdhsa_exception_int_div_zero 0
	.end_amdhsa_kernel
	.section	.text._Z9scan_bcaoIlLi1024EEvlPT_PKS0_,"axG",@progbits,_Z9scan_bcaoIlLi1024EEvlPT_PKS0_,comdat
.Lfunc_end31:
	.size	_Z9scan_bcaoIlLi1024EEvlPT_PKS0_, .Lfunc_end31-_Z9scan_bcaoIlLi1024EEvlPT_PKS0_
                                        ; -- End function
	.set _Z9scan_bcaoIlLi1024EEvlPT_PKS0_.num_vgpr, 33
	.set _Z9scan_bcaoIlLi1024EEvlPT_PKS0_.num_agpr, 0
	.set _Z9scan_bcaoIlLi1024EEvlPT_PKS0_.numbered_sgpr, 36
	.set _Z9scan_bcaoIlLi1024EEvlPT_PKS0_.num_named_barrier, 0
	.set _Z9scan_bcaoIlLi1024EEvlPT_PKS0_.private_seg_size, 0
	.set _Z9scan_bcaoIlLi1024EEvlPT_PKS0_.uses_vcc, 1
	.set _Z9scan_bcaoIlLi1024EEvlPT_PKS0_.uses_flat_scratch, 0
	.set _Z9scan_bcaoIlLi1024EEvlPT_PKS0_.has_dyn_sized_stack, 0
	.set _Z9scan_bcaoIlLi1024EEvlPT_PKS0_.has_recursion, 0
	.set _Z9scan_bcaoIlLi1024EEvlPT_PKS0_.has_indirect_call, 0
	.section	.AMDGPU.csdata,"",@progbits
; Kernel info:
; codeLenInByte = 2128
; TotalNumSgprs: 40
; NumVgprs: 33
; ScratchSize: 0
; MemoryBound: 0
; FloatMode: 240
; IeeeMode: 1
; LDSByteSize: 16384 bytes/workgroup (compile time only)
; SGPRBlocks: 8
; VGPRBlocks: 8
; NumSGPRsForWavesPerEU: 65
; NumVGPRsForWavesPerEU: 33
; Occupancy: 7
; WaveLimiterHint : 1
; COMPUTE_PGM_RSRC2:SCRATCH_EN: 0
; COMPUTE_PGM_RSRC2:USER_SGPR: 6
; COMPUTE_PGM_RSRC2:TRAP_HANDLER: 0
; COMPUTE_PGM_RSRC2:TGID_X_EN: 1
; COMPUTE_PGM_RSRC2:TGID_Y_EN: 0
; COMPUTE_PGM_RSRC2:TGID_Z_EN: 0
; COMPUTE_PGM_RSRC2:TIDIG_COMP_CNT: 0
	.section	.text._Z4scanIcLi2048EEvlPT_PKS0_,"axG",@progbits,_Z4scanIcLi2048EEvlPT_PKS0_,comdat
	.protected	_Z4scanIcLi2048EEvlPT_PKS0_ ; -- Begin function _Z4scanIcLi2048EEvlPT_PKS0_
	.globl	_Z4scanIcLi2048EEvlPT_PKS0_
	.p2align	8
	.type	_Z4scanIcLi2048EEvlPT_PKS0_,@function
_Z4scanIcLi2048EEvlPT_PKS0_:            ; @_Z4scanIcLi2048EEvlPT_PKS0_
; %bb.0:
	s_load_dwordx2 s[28:29], s[4:5], 0x0
	s_mov_b32 s7, 0
	v_mov_b32_e32 v1, s6
	v_mov_b32_e32 v2, s7
	s_waitcnt lgkmcnt(0)
	v_cmp_le_i64_e32 vcc, s[28:29], v[1:2]
	s_cbranch_vccnz .LBB32_45
; %bb.1:
	v_lshlrev_b32_e32 v1, 1, v0
	v_or_b32_e32 v18, 1, v1
	v_add_u32_e32 v19, 2, v1
	v_lshlrev_b32_e32 v4, 1, v18
	v_lshlrev_b32_e32 v5, 1, v19
	v_add_u32_e32 v2, -1, v4
	v_add_u32_e32 v3, -1, v5
	s_load_dwordx4 s[24:27], s[4:5], 0x8
	s_load_dword s30, s[4:5], 0x18
	v_add_u32_e32 v4, v2, v4
	v_add_u32_e32 v5, v3, v5
	v_lshl_add_u32 v6, v18, 2, v4
	v_lshl_add_u32 v7, v19, 2, v5
	;; [unrolled: 1-line block ×6, first 2 shown]
	s_mov_b32 s31, s7
	v_lshl_add_u32 v12, v18, 5, v10
	v_lshl_add_u32 v13, v19, 5, v11
	;; [unrolled: 1-line block ×4, first 2 shown]
	s_lshl_b64 s[22:23], s[6:7], 11
	s_waitcnt lgkmcnt(0)
	s_lshl_b64 s[34:35], s[30:31], 11
	s_movk_i32 s2, 0x200
	s_movk_i32 s4, 0x100
	;; [unrolled: 1-line block ×3, first 2 shown]
	v_lshl_add_u32 v16, v18, 7, v14
	v_lshl_add_u32 v17, v19, 7, v15
	s_add_u32 s24, s24, 1
	v_cmp_eq_u32_e64 s[0:1], 0, v0
	v_cmp_gt_u32_e64 s[2:3], s2, v0
	v_cmp_gt_u32_e64 s[4:5], s4, v0
	;; [unrolled: 1-line block ×9, first 2 shown]
	v_lshl_add_u32 v0, v18, 8, v16
	v_lshl_add_u32 v18, v19, 8, v17
	v_or_b32_e32 v19, s22, v1
	v_mov_b32_e32 v20, s23
	s_addc_u32 s25, s25, 0
	v_mov_b32_e32 v21, 0
	v_mov_b32_e32 v22, s27
	s_branch .LBB32_3
.LBB32_2:                               ;   in Loop: Header=BB32_3 Depth=1
	s_or_b64 exec, exec, s[22:23]
	s_waitcnt lgkmcnt(0)
	s_barrier
	ds_read_u16 v23, v1
	v_mov_b32_e32 v24, s25
	s_add_u32 s6, s6, s30
	s_addc_u32 s7, s7, 0
	s_waitcnt lgkmcnt(0)
	v_add_u16_sdwa v25, v23, v23 dst_sel:BYTE_1 dst_unused:UNUSED_PAD src0_sel:BYTE_1 src1_sel:DWORD
	v_or_b32_sdwa v25, v23, v25 dst_sel:DWORD dst_unused:UNUSED_PAD src0_sel:BYTE_1 src1_sel:DWORD
	v_add_co_u32_e32 v23, vcc, s24, v19
	v_addc_co_u32_e32 v24, vcc, v24, v20, vcc
	global_store_short v[23:24], v25, off offset:-1
	v_mov_b32_e32 v23, s28
	v_mov_b32_e32 v24, s29
	v_cmp_ge_i64_e32 vcc, s[6:7], v[23:24]
	ds_write_b16 v1, v25
	v_mov_b32_e32 v25, s35
	v_add_co_u32_e64 v19, s[22:23], s34, v19
	v_addc_co_u32_e64 v20, s[22:23], v20, v25, s[22:23]
	s_cbranch_vccnz .LBB32_45
.LBB32_3:                               ; =>This Inner Loop Header: Depth=1
	v_add_co_u32_e32 v23, vcc, s26, v19
	v_addc_co_u32_e32 v24, vcc, v22, v20, vcc
	global_load_ushort v23, v[23:24], off
	s_waitcnt vmcnt(0)
	ds_write_b16 v1, v23
	s_waitcnt lgkmcnt(0)
	s_barrier
	ds_read_u16 v23, v1
	s_waitcnt lgkmcnt(0)
	v_add_u16_sdwa v23, v23, v23 dst_sel:DWORD dst_unused:UNUSED_PAD src0_sel:BYTE_1 src1_sel:DWORD
	ds_write_b8 v1, v23 offset:1
	s_waitcnt lgkmcnt(0)
	s_barrier
	s_and_saveexec_b64 s[22:23], s[2:3]
	s_cbranch_execz .LBB32_5
; %bb.4:                                ;   in Loop: Header=BB32_3 Depth=1
	ds_read_u8 v23, v2
	ds_read_u8 v24, v3
	s_waitcnt lgkmcnt(0)
	v_add_u16_e32 v23, v24, v23
	ds_write_b8 v3, v23
.LBB32_5:                               ;   in Loop: Header=BB32_3 Depth=1
	s_or_b64 exec, exec, s[22:23]
	s_waitcnt lgkmcnt(0)
	s_barrier
	s_and_saveexec_b64 s[22:23], s[4:5]
	s_cbranch_execz .LBB32_7
; %bb.6:                                ;   in Loop: Header=BB32_3 Depth=1
	ds_read_u8 v23, v4
	ds_read_u8 v24, v5
	s_waitcnt lgkmcnt(0)
	v_add_u16_e32 v23, v24, v23
	ds_write_b8 v5, v23
.LBB32_7:                               ;   in Loop: Header=BB32_3 Depth=1
	s_or_b64 exec, exec, s[22:23]
	;; [unrolled: 12-line block ×3, first 2 shown]
	s_waitcnt lgkmcnt(0)
	s_barrier
	s_and_saveexec_b64 s[22:23], s[10:11]
	s_cbranch_execz .LBB32_11
; %bb.10:                               ;   in Loop: Header=BB32_3 Depth=1
	ds_read_u8 v23, v8
	ds_read_u8 v24, v9
	s_waitcnt lgkmcnt(0)
	v_add_u16_e32 v23, v24, v23
	ds_write_b8 v9, v23
.LBB32_11:                              ;   in Loop: Header=BB32_3 Depth=1
	s_or_b64 exec, exec, s[22:23]
	s_waitcnt lgkmcnt(0)
	s_barrier
	s_and_saveexec_b64 s[22:23], s[12:13]
	s_cbranch_execz .LBB32_13
; %bb.12:                               ;   in Loop: Header=BB32_3 Depth=1
	ds_read_u8 v23, v10
	ds_read_u8 v24, v11
	s_waitcnt lgkmcnt(0)
	v_add_u16_e32 v23, v24, v23
	ds_write_b8 v11, v23
.LBB32_13:                              ;   in Loop: Header=BB32_3 Depth=1
	s_or_b64 exec, exec, s[22:23]
	;; [unrolled: 12-line block ×6, first 2 shown]
	s_waitcnt lgkmcnt(0)
	s_barrier
	s_and_saveexec_b64 s[22:23], s[0:1]
	s_cbranch_execz .LBB32_23
; %bb.22:                               ;   in Loop: Header=BB32_3 Depth=1
	ds_read_u8 v23, v21 offset:1023
	ds_read_u8 v24, v21 offset:2047
	s_waitcnt lgkmcnt(0)
	v_add_u32_e32 v23, v24, v23
	ds_write_b8 v21, v23 offset:2047
.LBB32_23:                              ;   in Loop: Header=BB32_3 Depth=1
	s_or_b64 exec, exec, s[22:23]
	s_and_saveexec_b64 s[22:23], s[0:1]
; %bb.24:                               ;   in Loop: Header=BB32_3 Depth=1
	ds_write_b8 v21, v21 offset:2047
; %bb.25:                               ;   in Loop: Header=BB32_3 Depth=1
	s_or_b64 exec, exec, s[22:23]
	s_waitcnt lgkmcnt(0)
	s_barrier
	s_and_saveexec_b64 s[22:23], s[0:1]
	s_cbranch_execz .LBB32_27
; %bb.26:                               ;   in Loop: Header=BB32_3 Depth=1
	ds_read_u8 v23, v21 offset:2047
	ds_read_u8 v24, v21 offset:1023
	s_waitcnt lgkmcnt(1)
	ds_write_b8 v21, v23 offset:1023
	s_waitcnt lgkmcnt(1)
	v_add_u32_e32 v23, v23, v24
	ds_write_b8 v21, v23 offset:2047
.LBB32_27:                              ;   in Loop: Header=BB32_3 Depth=1
	s_or_b64 exec, exec, s[22:23]
	s_waitcnt lgkmcnt(0)
	s_barrier
	s_and_saveexec_b64 s[22:23], s[20:21]
	s_cbranch_execz .LBB32_29
; %bb.28:                               ;   in Loop: Header=BB32_3 Depth=1
	ds_read_u8 v23, v18
	ds_read_u8 v24, v0
	s_waitcnt lgkmcnt(1)
	ds_write_b8 v0, v23
	s_waitcnt lgkmcnt(1)
	v_add_u16_e32 v23, v23, v24
	ds_write_b8 v18, v23
.LBB32_29:                              ;   in Loop: Header=BB32_3 Depth=1
	s_or_b64 exec, exec, s[22:23]
	s_waitcnt lgkmcnt(0)
	s_barrier
	s_and_saveexec_b64 s[22:23], s[18:19]
	s_cbranch_execz .LBB32_31
; %bb.30:                               ;   in Loop: Header=BB32_3 Depth=1
	ds_read_u8 v23, v17
	ds_read_u8 v24, v16
	s_waitcnt lgkmcnt(1)
	ds_write_b8 v16, v23
	s_waitcnt lgkmcnt(1)
	v_add_u16_e32 v23, v23, v24
	ds_write_b8 v17, v23
.LBB32_31:                              ;   in Loop: Header=BB32_3 Depth=1
	;; [unrolled: 14-line block ×8, first 2 shown]
	s_or_b64 exec, exec, s[22:23]
	s_waitcnt lgkmcnt(0)
	s_barrier
	s_and_saveexec_b64 s[22:23], s[2:3]
	s_cbranch_execz .LBB32_2
; %bb.44:                               ;   in Loop: Header=BB32_3 Depth=1
	ds_read_u8 v23, v3
	ds_read_u8 v24, v2
	s_waitcnt lgkmcnt(1)
	ds_write_b8 v2, v23
	s_waitcnt lgkmcnt(1)
	v_add_u16_e32 v23, v23, v24
	ds_write_b8 v3, v23
	s_branch .LBB32_2
.LBB32_45:
	s_endpgm
	.section	.rodata,"a",@progbits
	.p2align	6, 0x0
	.amdhsa_kernel _Z4scanIcLi2048EEvlPT_PKS0_
		.amdhsa_group_segment_fixed_size 2048
		.amdhsa_private_segment_fixed_size 0
		.amdhsa_kernarg_size 280
		.amdhsa_user_sgpr_count 6
		.amdhsa_user_sgpr_private_segment_buffer 1
		.amdhsa_user_sgpr_dispatch_ptr 0
		.amdhsa_user_sgpr_queue_ptr 0
		.amdhsa_user_sgpr_kernarg_segment_ptr 1
		.amdhsa_user_sgpr_dispatch_id 0
		.amdhsa_user_sgpr_flat_scratch_init 0
		.amdhsa_user_sgpr_private_segment_size 0
		.amdhsa_uses_dynamic_stack 0
		.amdhsa_system_sgpr_private_segment_wavefront_offset 0
		.amdhsa_system_sgpr_workgroup_id_x 1
		.amdhsa_system_sgpr_workgroup_id_y 0
		.amdhsa_system_sgpr_workgroup_id_z 0
		.amdhsa_system_sgpr_workgroup_info 0
		.amdhsa_system_vgpr_workitem_id 0
		.amdhsa_next_free_vgpr 29
		.amdhsa_next_free_sgpr 61
		.amdhsa_reserve_vcc 1
		.amdhsa_reserve_flat_scratch 0
		.amdhsa_float_round_mode_32 0
		.amdhsa_float_round_mode_16_64 0
		.amdhsa_float_denorm_mode_32 3
		.amdhsa_float_denorm_mode_16_64 3
		.amdhsa_dx10_clamp 1
		.amdhsa_ieee_mode 1
		.amdhsa_fp16_overflow 0
		.amdhsa_exception_fp_ieee_invalid_op 0
		.amdhsa_exception_fp_denorm_src 0
		.amdhsa_exception_fp_ieee_div_zero 0
		.amdhsa_exception_fp_ieee_overflow 0
		.amdhsa_exception_fp_ieee_underflow 0
		.amdhsa_exception_fp_ieee_inexact 0
		.amdhsa_exception_int_div_zero 0
	.end_amdhsa_kernel
	.section	.text._Z4scanIcLi2048EEvlPT_PKS0_,"axG",@progbits,_Z4scanIcLi2048EEvlPT_PKS0_,comdat
.Lfunc_end32:
	.size	_Z4scanIcLi2048EEvlPT_PKS0_, .Lfunc_end32-_Z4scanIcLi2048EEvlPT_PKS0_
                                        ; -- End function
	.set _Z4scanIcLi2048EEvlPT_PKS0_.num_vgpr, 26
	.set _Z4scanIcLi2048EEvlPT_PKS0_.num_agpr, 0
	.set _Z4scanIcLi2048EEvlPT_PKS0_.numbered_sgpr, 36
	.set _Z4scanIcLi2048EEvlPT_PKS0_.num_named_barrier, 0
	.set _Z4scanIcLi2048EEvlPT_PKS0_.private_seg_size, 0
	.set _Z4scanIcLi2048EEvlPT_PKS0_.uses_vcc, 1
	.set _Z4scanIcLi2048EEvlPT_PKS0_.uses_flat_scratch, 0
	.set _Z4scanIcLi2048EEvlPT_PKS0_.has_dyn_sized_stack, 0
	.set _Z4scanIcLi2048EEvlPT_PKS0_.has_recursion, 0
	.set _Z4scanIcLi2048EEvlPT_PKS0_.has_indirect_call, 0
	.section	.AMDGPU.csdata,"",@progbits
; Kernel info:
; codeLenInByte = 1688
; TotalNumSgprs: 40
; NumVgprs: 26
; ScratchSize: 0
; MemoryBound: 0
; FloatMode: 240
; IeeeMode: 1
; LDSByteSize: 2048 bytes/workgroup (compile time only)
; SGPRBlocks: 8
; VGPRBlocks: 7
; NumSGPRsForWavesPerEU: 65
; NumVGPRsForWavesPerEU: 29
; Occupancy: 8
; WaveLimiterHint : 0
; COMPUTE_PGM_RSRC2:SCRATCH_EN: 0
; COMPUTE_PGM_RSRC2:USER_SGPR: 6
; COMPUTE_PGM_RSRC2:TRAP_HANDLER: 0
; COMPUTE_PGM_RSRC2:TGID_X_EN: 1
; COMPUTE_PGM_RSRC2:TGID_Y_EN: 0
; COMPUTE_PGM_RSRC2:TGID_Z_EN: 0
; COMPUTE_PGM_RSRC2:TIDIG_COMP_CNT: 0
	.section	.text._Z9scan_bcaoIcLi2048EEvlPT_PKS0_,"axG",@progbits,_Z9scan_bcaoIcLi2048EEvlPT_PKS0_,comdat
	.protected	_Z9scan_bcaoIcLi2048EEvlPT_PKS0_ ; -- Begin function _Z9scan_bcaoIcLi2048EEvlPT_PKS0_
	.globl	_Z9scan_bcaoIcLi2048EEvlPT_PKS0_
	.p2align	8
	.type	_Z9scan_bcaoIcLi2048EEvlPT_PKS0_,@function
_Z9scan_bcaoIcLi2048EEvlPT_PKS0_:       ; @_Z9scan_bcaoIcLi2048EEvlPT_PKS0_
; %bb.0:
	s_load_dwordx2 s[28:29], s[4:5], 0x0
	s_mov_b32 s7, 0
	v_mov_b32_e32 v1, s6
	v_mov_b32_e32 v2, s7
	s_waitcnt lgkmcnt(0)
	v_cmp_le_i64_e32 vcc, s[28:29], v[1:2]
	s_cbranch_vccnz .LBB33_45
; %bb.1:
	v_or_b32_e32 v1, 0x400, v0
	v_lshrrev_b32_e32 v18, 5, v1
	v_lshlrev_b32_e32 v1, 1, v0
	v_or_b32_e32 v15, 1, v1
	v_add_u32_e32 v16, 2, v1
	v_lshlrev_b32_e32 v3, 1, v15
	v_lshlrev_b32_e32 v5, 1, v16
	v_add_u32_e32 v4, -1, v3
	v_add_u32_e32 v6, -1, v5
	v_add_u32_e32 v9, v4, v3
	v_add_u32_e32 v10, v6, v5
	v_lshl_add_u32 v12, v15, 2, v9
	v_lshl_add_u32 v13, v16, 2, v10
	s_load_dwordx4 s[24:27], s[4:5], 0x8
	s_load_dword s30, s[4:5], 0x18
	v_lshl_add_u32 v20, v15, 3, v12
	v_lshl_add_u32 v21, v16, 3, v13
	;; [unrolled: 1-line block ×4, first 2 shown]
	v_lshrrev_b32_e32 v7, 5, v4
	v_lshrrev_b32_e32 v8, 5, v6
	;; [unrolled: 1-line block ×3, first 2 shown]
	v_lshl_add_u32 v29, v15, 5, v25
	v_lshl_add_u32 v30, v16, 5, v26
	v_lshrrev_b32_e32 v5, 5, v9
	v_lshrrev_b32_e32 v11, 5, v10
	;; [unrolled: 1-line block ×4, first 2 shown]
	v_add_u32_e32 v3, v4, v7
	v_add_u32_e32 v4, v6, v8
	v_lshl_add_u32 v33, v15, 6, v29
	v_add_u32_e32 v8, v13, v19
	v_lshl_add_u32 v19, v16, 6, v30
	s_mov_b32 s31, s7
	v_lshrrev_b32_e32 v14, 5, v12
	v_lshrrev_b32_e32 v27, 5, v25
	v_lshrrev_b32_e32 v28, 5, v26
	v_add_u32_e32 v5, v9, v5
	v_add_u32_e32 v6, v10, v11
	;; [unrolled: 1-line block ×4, first 2 shown]
	v_lshl_add_u32 v22, v15, 7, v33
	v_lshl_add_u32 v24, v16, 7, v19
	v_lshrrev_b32_e32 v31, 5, v29
	v_lshrrev_b32_e32 v32, 5, v30
	v_add_u32_e32 v7, v12, v14
	v_add_u32_e32 v11, v25, v27
	;; [unrolled: 1-line block ×3, first 2 shown]
	v_lshl_add_u32 v27, v15, 8, v22
	v_lshl_add_u32 v28, v16, 8, v24
	s_lshl_b64 s[22:23], s[6:7], 11
	s_waitcnt lgkmcnt(0)
	s_lshl_b64 s[34:35], s[30:31], 11
	v_lshrrev_b32_e32 v17, 5, v0
	v_lshrrev_b32_e32 v2, 4, v0
	v_add_u32_e32 v23, v0, v0
	s_movk_i32 s2, 0x200
	s_movk_i32 s4, 0x100
	;; [unrolled: 1-line block ×3, first 2 shown]
	v_lshrrev_b32_e32 v20, 5, v33
	v_lshrrev_b32_e32 v21, 5, v19
	v_add_u32_e32 v13, v29, v31
	v_lshrrev_b32_e32 v25, 5, v22
	v_add_u32_e32 v14, v30, v32
	v_lshrrev_b32_e32 v26, 5, v24
	v_lshrrev_b32_e32 v29, 5, v27
	;; [unrolled: 1-line block ×3, first 2 shown]
	s_add_u32 s24, s24, 0x400
	v_cmp_eq_u32_e64 s[0:1], 0, v0
	v_cmp_gt_u32_e64 s[2:3], s2, v0
	v_cmp_gt_u32_e64 s[4:5], s4, v0
	;; [unrolled: 1-line block ×9, first 2 shown]
	v_add_u32_e32 v15, v33, v20
	v_add_u32_e32 v16, v19, v21
	v_add_u32_e32 v17, v0, v17
	v_add_u32_e32 v18, v0, v18
	v_or_b32_e32 v0, s22, v0
	v_add_u32_e32 v19, v22, v25
	v_mov_b32_e32 v20, s23
	s_addc_u32 s25, s25, 0
	v_add_u32_e32 v21, v24, v26
	v_mov_b32_e32 v22, s27
	v_add_u32_e32 v23, v23, v2
	v_add_u32_e32 v24, v27, v29
	v_mov_b32_e32 v25, 0
	v_add_u32_e32 v26, v28, v30
	s_branch .LBB33_3
.LBB33_2:                               ;   in Loop: Header=BB33_3 Depth=1
	s_or_b64 exec, exec, s[22:23]
	v_add_u32_e32 v27, v1, v2
	s_waitcnt lgkmcnt(0)
	s_barrier
	ds_read_u8 v28, v27 offset:1
	ds_read_u8 v29, v27
	s_add_u32 s6, s6, s30
	s_addc_u32 s7, s7, 0
	s_waitcnt lgkmcnt(1)
	ds_write_b8 v27, v28
	s_waitcnt lgkmcnt(1)
	v_add_u16_e32 v28, v28, v29
	ds_write_b8 v27, v28 offset:1
	s_waitcnt lgkmcnt(0)
	s_barrier
	ds_read_u8 v29, v17
	ds_read_u8 v30, v18 offset:1024
	v_mov_b32_e32 v28, s25
	v_add_co_u32_e32 v27, vcc, s24, v0
	v_addc_co_u32_e32 v28, vcc, v28, v20, vcc
	s_waitcnt lgkmcnt(1)
	global_store_byte v[27:28], v29, off offset:-1024
	s_waitcnt lgkmcnt(0)
	global_store_byte v[27:28], v30, off
	v_mov_b32_e32 v27, s28
	v_mov_b32_e32 v28, s29
	v_cmp_ge_i64_e32 vcc, s[6:7], v[27:28]
	v_mov_b32_e32 v29, s35
	v_add_co_u32_e64 v0, s[22:23], s34, v0
	v_addc_co_u32_e64 v20, s[22:23], v20, v29, s[22:23]
	s_cbranch_vccnz .LBB33_45
.LBB33_3:                               ; =>This Inner Loop Header: Depth=1
	v_add_co_u32_e32 v27, vcc, s26, v0
	v_addc_co_u32_e32 v28, vcc, v22, v20, vcc
	global_load_ubyte v29, v[27:28], off
	global_load_ubyte v30, v[27:28], off offset:1024
	s_waitcnt vmcnt(1)
	ds_write_b8 v17, v29
	s_waitcnt vmcnt(0)
	ds_write_b8 v18, v30 offset:1024
	s_waitcnt lgkmcnt(0)
	s_barrier
	ds_read_u8 v27, v23
	ds_read_u8 v28, v23 offset:1
	s_waitcnt lgkmcnt(0)
	v_add_u16_e32 v27, v28, v27
	ds_write_b8 v23, v27 offset:1
	s_waitcnt lgkmcnt(0)
	s_barrier
	s_and_saveexec_b64 s[22:23], s[2:3]
	s_cbranch_execz .LBB33_5
; %bb.4:                                ;   in Loop: Header=BB33_3 Depth=1
	ds_read_u8 v27, v3
	ds_read_u8 v28, v4
	s_waitcnt lgkmcnt(0)
	v_add_u16_e32 v27, v28, v27
	ds_write_b8 v4, v27
.LBB33_5:                               ;   in Loop: Header=BB33_3 Depth=1
	s_or_b64 exec, exec, s[22:23]
	s_waitcnt lgkmcnt(0)
	s_barrier
	s_and_saveexec_b64 s[22:23], s[4:5]
	s_cbranch_execz .LBB33_7
; %bb.6:                                ;   in Loop: Header=BB33_3 Depth=1
	ds_read_u8 v27, v5
	ds_read_u8 v28, v6
	s_waitcnt lgkmcnt(0)
	v_add_u16_e32 v27, v28, v27
	ds_write_b8 v6, v27
.LBB33_7:                               ;   in Loop: Header=BB33_3 Depth=1
	s_or_b64 exec, exec, s[22:23]
	;; [unrolled: 12-line block ×3, first 2 shown]
	s_waitcnt lgkmcnt(0)
	s_barrier
	s_and_saveexec_b64 s[22:23], s[10:11]
	s_cbranch_execz .LBB33_11
; %bb.10:                               ;   in Loop: Header=BB33_3 Depth=1
	ds_read_u8 v27, v9
	ds_read_u8 v28, v10
	s_waitcnt lgkmcnt(0)
	v_add_u16_e32 v27, v28, v27
	ds_write_b8 v10, v27
.LBB33_11:                              ;   in Loop: Header=BB33_3 Depth=1
	s_or_b64 exec, exec, s[22:23]
	s_waitcnt lgkmcnt(0)
	s_barrier
	s_and_saveexec_b64 s[22:23], s[12:13]
	s_cbranch_execz .LBB33_13
; %bb.12:                               ;   in Loop: Header=BB33_3 Depth=1
	ds_read_u8 v27, v11
	ds_read_u8 v28, v12
	s_waitcnt lgkmcnt(0)
	v_add_u16_e32 v27, v28, v27
	ds_write_b8 v12, v27
.LBB33_13:                              ;   in Loop: Header=BB33_3 Depth=1
	s_or_b64 exec, exec, s[22:23]
	;; [unrolled: 12-line block ×6, first 2 shown]
	s_waitcnt lgkmcnt(0)
	s_barrier
	s_and_saveexec_b64 s[22:23], s[0:1]
	s_cbranch_execz .LBB33_23
; %bb.22:                               ;   in Loop: Header=BB33_3 Depth=1
	ds_read_u8 v27, v25 offset:1054
	ds_read_u8 v28, v25 offset:2110
	s_waitcnt lgkmcnt(0)
	v_add_u32_e32 v27, v28, v27
	ds_write_b8 v25, v27 offset:2110
.LBB33_23:                              ;   in Loop: Header=BB33_3 Depth=1
	s_or_b64 exec, exec, s[22:23]
	s_and_saveexec_b64 s[22:23], s[0:1]
; %bb.24:                               ;   in Loop: Header=BB33_3 Depth=1
	ds_write_b8 v25, v25 offset:2110
; %bb.25:                               ;   in Loop: Header=BB33_3 Depth=1
	s_or_b64 exec, exec, s[22:23]
	s_waitcnt lgkmcnt(0)
	s_barrier
	s_and_saveexec_b64 s[22:23], s[0:1]
	s_cbranch_execz .LBB33_27
; %bb.26:                               ;   in Loop: Header=BB33_3 Depth=1
	ds_read_u8 v27, v25 offset:2110
	ds_read_u8 v28, v25 offset:1054
	s_waitcnt lgkmcnt(1)
	ds_write_b8 v25, v27 offset:1054
	s_waitcnt lgkmcnt(1)
	v_add_u32_e32 v27, v27, v28
	ds_write_b8 v25, v27 offset:2110
.LBB33_27:                              ;   in Loop: Header=BB33_3 Depth=1
	s_or_b64 exec, exec, s[22:23]
	s_waitcnt lgkmcnt(0)
	s_barrier
	s_and_saveexec_b64 s[22:23], s[20:21]
	s_cbranch_execz .LBB33_29
; %bb.28:                               ;   in Loop: Header=BB33_3 Depth=1
	ds_read_u8 v27, v26
	ds_read_u8 v28, v24
	s_waitcnt lgkmcnt(1)
	ds_write_b8 v24, v27
	s_waitcnt lgkmcnt(1)
	v_add_u16_e32 v27, v27, v28
	ds_write_b8 v26, v27
.LBB33_29:                              ;   in Loop: Header=BB33_3 Depth=1
	s_or_b64 exec, exec, s[22:23]
	s_waitcnt lgkmcnt(0)
	s_barrier
	s_and_saveexec_b64 s[22:23], s[18:19]
	s_cbranch_execz .LBB33_31
; %bb.30:                               ;   in Loop: Header=BB33_3 Depth=1
	ds_read_u8 v27, v21
	ds_read_u8 v28, v19
	s_waitcnt lgkmcnt(1)
	ds_write_b8 v19, v27
	s_waitcnt lgkmcnt(1)
	v_add_u16_e32 v27, v27, v28
	ds_write_b8 v21, v27
.LBB33_31:                              ;   in Loop: Header=BB33_3 Depth=1
	;; [unrolled: 14-line block ×8, first 2 shown]
	s_or_b64 exec, exec, s[22:23]
	s_waitcnt lgkmcnt(0)
	s_barrier
	s_and_saveexec_b64 s[22:23], s[2:3]
	s_cbranch_execz .LBB33_2
; %bb.44:                               ;   in Loop: Header=BB33_3 Depth=1
	ds_read_u8 v27, v4
	ds_read_u8 v28, v3
	s_waitcnt lgkmcnt(1)
	ds_write_b8 v3, v27
	s_waitcnt lgkmcnt(1)
	v_add_u16_e32 v27, v27, v28
	ds_write_b8 v4, v27
	s_branch .LBB33_2
.LBB33_45:
	s_endpgm
	.section	.rodata,"a",@progbits
	.p2align	6, 0x0
	.amdhsa_kernel _Z9scan_bcaoIcLi2048EEvlPT_PKS0_
		.amdhsa_group_segment_fixed_size 4096
		.amdhsa_private_segment_fixed_size 0
		.amdhsa_kernarg_size 280
		.amdhsa_user_sgpr_count 6
		.amdhsa_user_sgpr_private_segment_buffer 1
		.amdhsa_user_sgpr_dispatch_ptr 0
		.amdhsa_user_sgpr_queue_ptr 0
		.amdhsa_user_sgpr_kernarg_segment_ptr 1
		.amdhsa_user_sgpr_dispatch_id 0
		.amdhsa_user_sgpr_flat_scratch_init 0
		.amdhsa_user_sgpr_private_segment_size 0
		.amdhsa_uses_dynamic_stack 0
		.amdhsa_system_sgpr_private_segment_wavefront_offset 0
		.amdhsa_system_sgpr_workgroup_id_x 1
		.amdhsa_system_sgpr_workgroup_id_y 0
		.amdhsa_system_sgpr_workgroup_id_z 0
		.amdhsa_system_sgpr_workgroup_info 0
		.amdhsa_system_vgpr_workitem_id 0
		.amdhsa_next_free_vgpr 34
		.amdhsa_next_free_sgpr 61
		.amdhsa_reserve_vcc 1
		.amdhsa_reserve_flat_scratch 0
		.amdhsa_float_round_mode_32 0
		.amdhsa_float_round_mode_16_64 0
		.amdhsa_float_denorm_mode_32 3
		.amdhsa_float_denorm_mode_16_64 3
		.amdhsa_dx10_clamp 1
		.amdhsa_ieee_mode 1
		.amdhsa_fp16_overflow 0
		.amdhsa_exception_fp_ieee_invalid_op 0
		.amdhsa_exception_fp_denorm_src 0
		.amdhsa_exception_fp_ieee_div_zero 0
		.amdhsa_exception_fp_ieee_overflow 0
		.amdhsa_exception_fp_ieee_underflow 0
		.amdhsa_exception_fp_ieee_inexact 0
		.amdhsa_exception_int_div_zero 0
	.end_amdhsa_kernel
	.section	.text._Z9scan_bcaoIcLi2048EEvlPT_PKS0_,"axG",@progbits,_Z9scan_bcaoIcLi2048EEvlPT_PKS0_,comdat
.Lfunc_end33:
	.size	_Z9scan_bcaoIcLi2048EEvlPT_PKS0_, .Lfunc_end33-_Z9scan_bcaoIcLi2048EEvlPT_PKS0_
                                        ; -- End function
	.set _Z9scan_bcaoIcLi2048EEvlPT_PKS0_.num_vgpr, 34
	.set _Z9scan_bcaoIcLi2048EEvlPT_PKS0_.num_agpr, 0
	.set _Z9scan_bcaoIcLi2048EEvlPT_PKS0_.numbered_sgpr, 36
	.set _Z9scan_bcaoIcLi2048EEvlPT_PKS0_.num_named_barrier, 0
	.set _Z9scan_bcaoIcLi2048EEvlPT_PKS0_.private_seg_size, 0
	.set _Z9scan_bcaoIcLi2048EEvlPT_PKS0_.uses_vcc, 1
	.set _Z9scan_bcaoIcLi2048EEvlPT_PKS0_.uses_flat_scratch, 0
	.set _Z9scan_bcaoIcLi2048EEvlPT_PKS0_.has_dyn_sized_stack, 0
	.set _Z9scan_bcaoIcLi2048EEvlPT_PKS0_.has_recursion, 0
	.set _Z9scan_bcaoIcLi2048EEvlPT_PKS0_.has_indirect_call, 0
	.section	.AMDGPU.csdata,"",@progbits
; Kernel info:
; codeLenInByte = 1948
; TotalNumSgprs: 40
; NumVgprs: 34
; ScratchSize: 0
; MemoryBound: 0
; FloatMode: 240
; IeeeMode: 1
; LDSByteSize: 4096 bytes/workgroup (compile time only)
; SGPRBlocks: 8
; VGPRBlocks: 8
; NumSGPRsForWavesPerEU: 65
; NumVGPRsForWavesPerEU: 34
; Occupancy: 7
; WaveLimiterHint : 1
; COMPUTE_PGM_RSRC2:SCRATCH_EN: 0
; COMPUTE_PGM_RSRC2:USER_SGPR: 6
; COMPUTE_PGM_RSRC2:TRAP_HANDLER: 0
; COMPUTE_PGM_RSRC2:TGID_X_EN: 1
; COMPUTE_PGM_RSRC2:TGID_Y_EN: 0
; COMPUTE_PGM_RSRC2:TGID_Z_EN: 0
; COMPUTE_PGM_RSRC2:TIDIG_COMP_CNT: 0
	.section	.text._Z4scanIsLi2048EEvlPT_PKS0_,"axG",@progbits,_Z4scanIsLi2048EEvlPT_PKS0_,comdat
	.protected	_Z4scanIsLi2048EEvlPT_PKS0_ ; -- Begin function _Z4scanIsLi2048EEvlPT_PKS0_
	.globl	_Z4scanIsLi2048EEvlPT_PKS0_
	.p2align	8
	.type	_Z4scanIsLi2048EEvlPT_PKS0_,@function
_Z4scanIsLi2048EEvlPT_PKS0_:            ; @_Z4scanIsLi2048EEvlPT_PKS0_
; %bb.0:
	s_load_dwordx2 s[22:23], s[4:5], 0x0
	s_mov_b32 s7, 0
	v_mov_b32_e32 v1, s6
	v_mov_b32_e32 v2, s7
	s_waitcnt lgkmcnt(0)
	v_cmp_le_i64_e32 vcc, s[22:23], v[1:2]
	s_cbranch_vccnz .LBB34_45
; %bb.1:
	v_lshlrev_b32_e32 v1, 1, v0
	v_or_b32_e32 v19, 1, v1
	v_add_u32_e32 v1, 2, v1
	v_lshlrev_b32_e32 v6, 2, v1
	v_lshlrev_b32_e32 v5, 2, v19
	v_add_u32_e32 v4, -2, v6
	v_add_u32_e32 v3, -2, v5
	v_add_u32_e32 v6, v4, v6
	v_add_u32_e32 v5, v3, v5
	v_lshl_add_u32 v8, v1, 3, v6
	s_load_dwordx4 s[24:27], s[4:5], 0x8
	s_load_dword s28, s[4:5], 0x18
	v_lshl_add_u32 v7, v19, 3, v5
	v_lshl_add_u32 v10, v1, 4, v8
	;; [unrolled: 1-line block ×8, first 2 shown]
	v_lshlrev_b32_e32 v2, 2, v0
	s_mov_b32 s29, s7
	s_movk_i32 s2, 0x200
	s_movk_i32 s4, 0x100
	s_movk_i32 s8, 0x80
	v_lshl_add_u32 v15, v19, 7, v13
	v_lshl_add_u32 v18, v1, 8, v16
	s_lshl_b64 s[30:31], s[6:7], 12
	v_cmp_eq_u32_e64 s[0:1], 0, v0
	v_cmp_gt_u32_e64 s[2:3], s2, v0
	v_cmp_gt_u32_e64 s[4:5], s4, v0
	;; [unrolled: 1-line block ×8, first 2 shown]
	v_lshl_add_u32 v17, v19, 8, v15
	v_cmp_gt_u32_e64 s[20:21], 2, v0
	v_lshl_add_u32 v20, v1, 9, v18
	v_or_b32_e32 v21, s30, v2
	v_mov_b32_e32 v22, s31
	s_waitcnt lgkmcnt(0)
	s_lshl_b64 s[30:31], s[28:29], 12
	v_mov_b32_e32 v0, s22
	v_lshl_add_u32 v19, v19, 9, v17
	v_mov_b32_e32 v23, s27
	v_mov_b32_e32 v24, 0
	v_mov_b32_e32 v25, s25
	v_mov_b32_e32 v26, s31
	v_mov_b32_e32 v1, s23
	s_branch .LBB34_3
.LBB34_2:                               ;   in Loop: Header=BB34_3 Depth=1
	s_or_b64 exec, exec, s[22:23]
	s_waitcnt lgkmcnt(0)
	s_barrier
	ds_read_b32 v27, v2
	s_add_u32 s6, s6, s28
	s_addc_u32 s7, s7, 0
	s_waitcnt lgkmcnt(0)
	v_add_u16_sdwa v28, v27, v27 dst_sel:DWORD dst_unused:UNUSED_PAD src0_sel:WORD_1 src1_sel:DWORD
	v_alignbit_b32 v29, v28, v27, 16
	v_add_co_u32_e32 v27, vcc, s24, v21
	v_addc_co_u32_e32 v28, vcc, v25, v22, vcc
	v_cmp_ge_i64_e32 vcc, s[6:7], v[0:1]
	v_add_co_u32_e64 v21, s[22:23], s30, v21
	v_addc_co_u32_e64 v22, s[22:23], v22, v26, s[22:23]
	ds_write_b32 v2, v29
	global_store_dword v[27:28], v29, off
	s_cbranch_vccnz .LBB34_45
.LBB34_3:                               ; =>This Inner Loop Header: Depth=1
	v_add_co_u32_e32 v27, vcc, s26, v21
	v_addc_co_u32_e32 v28, vcc, v23, v22, vcc
	global_load_dword v27, v[27:28], off
	s_waitcnt vmcnt(0)
	ds_write_b32 v2, v27
	s_waitcnt lgkmcnt(0)
	s_barrier
	ds_read_b32 v27, v2
	s_waitcnt lgkmcnt(0)
	v_add_u16_sdwa v27, v27, v27 dst_sel:DWORD dst_unused:UNUSED_PAD src0_sel:WORD_1 src1_sel:DWORD
	ds_write_b16 v2, v27 offset:2
	s_waitcnt lgkmcnt(0)
	s_barrier
	s_and_saveexec_b64 s[22:23], s[2:3]
	s_cbranch_execz .LBB34_5
; %bb.4:                                ;   in Loop: Header=BB34_3 Depth=1
	ds_read_u16 v27, v3
	ds_read_u16 v28, v4
	s_waitcnt lgkmcnt(0)
	v_add_u16_e32 v27, v28, v27
	ds_write_b16 v4, v27
.LBB34_5:                               ;   in Loop: Header=BB34_3 Depth=1
	s_or_b64 exec, exec, s[22:23]
	s_waitcnt lgkmcnt(0)
	s_barrier
	s_and_saveexec_b64 s[22:23], s[4:5]
	s_cbranch_execz .LBB34_7
; %bb.6:                                ;   in Loop: Header=BB34_3 Depth=1
	ds_read_u16 v27, v5
	ds_read_u16 v28, v6
	s_waitcnt lgkmcnt(0)
	v_add_u16_e32 v27, v28, v27
	ds_write_b16 v6, v27
.LBB34_7:                               ;   in Loop: Header=BB34_3 Depth=1
	s_or_b64 exec, exec, s[22:23]
	;; [unrolled: 12-line block ×3, first 2 shown]
	s_waitcnt lgkmcnt(0)
	s_barrier
	s_and_saveexec_b64 s[22:23], s[10:11]
	s_cbranch_execz .LBB34_11
; %bb.10:                               ;   in Loop: Header=BB34_3 Depth=1
	ds_read_u16 v27, v9
	ds_read_u16 v28, v10
	s_waitcnt lgkmcnt(0)
	v_add_u16_e32 v27, v28, v27
	ds_write_b16 v10, v27
.LBB34_11:                              ;   in Loop: Header=BB34_3 Depth=1
	s_or_b64 exec, exec, s[22:23]
	s_waitcnt lgkmcnt(0)
	s_barrier
	s_and_saveexec_b64 s[22:23], s[12:13]
	s_cbranch_execz .LBB34_13
; %bb.12:                               ;   in Loop: Header=BB34_3 Depth=1
	ds_read_u16 v27, v11
	ds_read_u16 v28, v12
	s_waitcnt lgkmcnt(0)
	v_add_u16_e32 v27, v28, v27
	ds_write_b16 v12, v27
.LBB34_13:                              ;   in Loop: Header=BB34_3 Depth=1
	s_or_b64 exec, exec, s[22:23]
	;; [unrolled: 12-line block ×6, first 2 shown]
	s_waitcnt lgkmcnt(0)
	s_barrier
	s_and_saveexec_b64 s[22:23], s[0:1]
	s_cbranch_execz .LBB34_23
; %bb.22:                               ;   in Loop: Header=BB34_3 Depth=1
	ds_read_u16 v27, v24 offset:2046
	ds_read_u16 v28, v24 offset:4094
	s_waitcnt lgkmcnt(0)
	v_add_u32_e32 v27, v28, v27
	ds_write_b16 v24, v27 offset:4094
.LBB34_23:                              ;   in Loop: Header=BB34_3 Depth=1
	s_or_b64 exec, exec, s[22:23]
	s_and_saveexec_b64 s[22:23], s[0:1]
; %bb.24:                               ;   in Loop: Header=BB34_3 Depth=1
	ds_write_b16 v24, v24 offset:4094
; %bb.25:                               ;   in Loop: Header=BB34_3 Depth=1
	s_or_b64 exec, exec, s[22:23]
	s_waitcnt lgkmcnt(0)
	s_barrier
	s_and_saveexec_b64 s[22:23], s[0:1]
	s_cbranch_execz .LBB34_27
; %bb.26:                               ;   in Loop: Header=BB34_3 Depth=1
	ds_read_u16 v27, v24 offset:4094
	ds_read_u16 v28, v24 offset:2046
	s_waitcnt lgkmcnt(1)
	ds_write_b16 v24, v27 offset:2046
	s_waitcnt lgkmcnt(1)
	v_add_u32_e32 v27, v27, v28
	ds_write_b16 v24, v27 offset:4094
.LBB34_27:                              ;   in Loop: Header=BB34_3 Depth=1
	s_or_b64 exec, exec, s[22:23]
	s_waitcnt lgkmcnt(0)
	s_barrier
	s_and_saveexec_b64 s[22:23], s[20:21]
	s_cbranch_execz .LBB34_29
; %bb.28:                               ;   in Loop: Header=BB34_3 Depth=1
	ds_read_u16 v27, v20
	ds_read_u16 v28, v19
	s_waitcnt lgkmcnt(1)
	ds_write_b16 v19, v27
	s_waitcnt lgkmcnt(1)
	v_add_u16_e32 v27, v27, v28
	ds_write_b16 v20, v27
.LBB34_29:                              ;   in Loop: Header=BB34_3 Depth=1
	s_or_b64 exec, exec, s[22:23]
	s_waitcnt lgkmcnt(0)
	s_barrier
	s_and_saveexec_b64 s[22:23], s[18:19]
	s_cbranch_execz .LBB34_31
; %bb.30:                               ;   in Loop: Header=BB34_3 Depth=1
	ds_read_u16 v27, v18
	ds_read_u16 v28, v17
	s_waitcnt lgkmcnt(1)
	ds_write_b16 v17, v27
	s_waitcnt lgkmcnt(1)
	v_add_u16_e32 v27, v27, v28
	ds_write_b16 v18, v27
.LBB34_31:                              ;   in Loop: Header=BB34_3 Depth=1
	;; [unrolled: 14-line block ×8, first 2 shown]
	s_or_b64 exec, exec, s[22:23]
	s_waitcnt lgkmcnt(0)
	s_barrier
	s_and_saveexec_b64 s[22:23], s[2:3]
	s_cbranch_execz .LBB34_2
; %bb.44:                               ;   in Loop: Header=BB34_3 Depth=1
	ds_read_u16 v27, v4
	ds_read_u16 v28, v3
	s_waitcnt lgkmcnt(1)
	ds_write_b16 v3, v27
	s_waitcnt lgkmcnt(1)
	v_add_u16_e32 v27, v27, v28
	ds_write_b16 v4, v27
	s_branch .LBB34_2
.LBB34_45:
	s_endpgm
	.section	.rodata,"a",@progbits
	.p2align	6, 0x0
	.amdhsa_kernel _Z4scanIsLi2048EEvlPT_PKS0_
		.amdhsa_group_segment_fixed_size 4096
		.amdhsa_private_segment_fixed_size 0
		.amdhsa_kernarg_size 280
		.amdhsa_user_sgpr_count 6
		.amdhsa_user_sgpr_private_segment_buffer 1
		.amdhsa_user_sgpr_dispatch_ptr 0
		.amdhsa_user_sgpr_queue_ptr 0
		.amdhsa_user_sgpr_kernarg_segment_ptr 1
		.amdhsa_user_sgpr_dispatch_id 0
		.amdhsa_user_sgpr_flat_scratch_init 0
		.amdhsa_user_sgpr_private_segment_size 0
		.amdhsa_uses_dynamic_stack 0
		.amdhsa_system_sgpr_private_segment_wavefront_offset 0
		.amdhsa_system_sgpr_workgroup_id_x 1
		.amdhsa_system_sgpr_workgroup_id_y 0
		.amdhsa_system_sgpr_workgroup_id_z 0
		.amdhsa_system_sgpr_workgroup_info 0
		.amdhsa_system_vgpr_workitem_id 0
		.amdhsa_next_free_vgpr 30
		.amdhsa_next_free_sgpr 61
		.amdhsa_reserve_vcc 1
		.amdhsa_reserve_flat_scratch 0
		.amdhsa_float_round_mode_32 0
		.amdhsa_float_round_mode_16_64 0
		.amdhsa_float_denorm_mode_32 3
		.amdhsa_float_denorm_mode_16_64 3
		.amdhsa_dx10_clamp 1
		.amdhsa_ieee_mode 1
		.amdhsa_fp16_overflow 0
		.amdhsa_exception_fp_ieee_invalid_op 0
		.amdhsa_exception_fp_denorm_src 0
		.amdhsa_exception_fp_ieee_div_zero 0
		.amdhsa_exception_fp_ieee_overflow 0
		.amdhsa_exception_fp_ieee_underflow 0
		.amdhsa_exception_fp_ieee_inexact 0
		.amdhsa_exception_int_div_zero 0
	.end_amdhsa_kernel
	.section	.text._Z4scanIsLi2048EEvlPT_PKS0_,"axG",@progbits,_Z4scanIsLi2048EEvlPT_PKS0_,comdat
.Lfunc_end34:
	.size	_Z4scanIsLi2048EEvlPT_PKS0_, .Lfunc_end34-_Z4scanIsLi2048EEvlPT_PKS0_
                                        ; -- End function
	.set _Z4scanIsLi2048EEvlPT_PKS0_.num_vgpr, 30
	.set _Z4scanIsLi2048EEvlPT_PKS0_.num_agpr, 0
	.set _Z4scanIsLi2048EEvlPT_PKS0_.numbered_sgpr, 32
	.set _Z4scanIsLi2048EEvlPT_PKS0_.num_named_barrier, 0
	.set _Z4scanIsLi2048EEvlPT_PKS0_.private_seg_size, 0
	.set _Z4scanIsLi2048EEvlPT_PKS0_.uses_vcc, 1
	.set _Z4scanIsLi2048EEvlPT_PKS0_.uses_flat_scratch, 0
	.set _Z4scanIsLi2048EEvlPT_PKS0_.has_dyn_sized_stack, 0
	.set _Z4scanIsLi2048EEvlPT_PKS0_.has_recursion, 0
	.set _Z4scanIsLi2048EEvlPT_PKS0_.has_indirect_call, 0
	.section	.AMDGPU.csdata,"",@progbits
; Kernel info:
; codeLenInByte = 1684
; TotalNumSgprs: 36
; NumVgprs: 30
; ScratchSize: 0
; MemoryBound: 0
; FloatMode: 240
; IeeeMode: 1
; LDSByteSize: 4096 bytes/workgroup (compile time only)
; SGPRBlocks: 8
; VGPRBlocks: 7
; NumSGPRsForWavesPerEU: 65
; NumVGPRsForWavesPerEU: 30
; Occupancy: 8
; WaveLimiterHint : 0
; COMPUTE_PGM_RSRC2:SCRATCH_EN: 0
; COMPUTE_PGM_RSRC2:USER_SGPR: 6
; COMPUTE_PGM_RSRC2:TRAP_HANDLER: 0
; COMPUTE_PGM_RSRC2:TGID_X_EN: 1
; COMPUTE_PGM_RSRC2:TGID_Y_EN: 0
; COMPUTE_PGM_RSRC2:TGID_Z_EN: 0
; COMPUTE_PGM_RSRC2:TIDIG_COMP_CNT: 0
	.section	.text._Z9scan_bcaoIsLi2048EEvlPT_PKS0_,"axG",@progbits,_Z9scan_bcaoIsLi2048EEvlPT_PKS0_,comdat
	.protected	_Z9scan_bcaoIsLi2048EEvlPT_PKS0_ ; -- Begin function _Z9scan_bcaoIsLi2048EEvlPT_PKS0_
	.globl	_Z9scan_bcaoIsLi2048EEvlPT_PKS0_
	.p2align	8
	.type	_Z9scan_bcaoIsLi2048EEvlPT_PKS0_,@function
_Z9scan_bcaoIsLi2048EEvlPT_PKS0_:       ; @_Z9scan_bcaoIsLi2048EEvlPT_PKS0_
; %bb.0:
	s_load_dwordx2 s[28:29], s[4:5], 0x0
	s_mov_b32 s7, 0
	v_mov_b32_e32 v1, s6
	v_mov_b32_e32 v2, s7
	s_waitcnt lgkmcnt(0)
	v_cmp_le_i64_e32 vcc, s[28:29], v[1:2]
	s_cbranch_vccnz .LBB35_45
; %bb.1:
	v_lshlrev_b32_e32 v22, 1, v0
	v_or_b32_e32 v20, 1, v22
	v_lshlrev_b32_e32 v6, 1, v20
	v_add_u32_e32 v21, 2, v22
	v_add_u32_e32 v7, -1, v6
	v_lshlrev_b32_e32 v8, 1, v21
	v_add_u32_e32 v11, v7, v6
	v_add_u32_e32 v9, -1, v8
	v_lshrrev_b32_e32 v4, 4, v7
	v_lshrrev_b32_e32 v6, 4, v11
	v_and_b32_e32 v4, 0xfe, v4
	v_lshrrev_b32_e32 v5, 4, v9
	v_add_u32_e32 v8, v9, v8
	v_and_b32_e32 v6, 0xffffffe, v6
	v_lshl_add_u32 v4, v7, 1, v4
	v_lshlrev_b32_e32 v10, 1, v9
	v_and_b32_e32 v5, 0xffffffe, v5
	v_lshl_add_u32 v6, v11, 1, v6
	v_lshlrev_b32_e32 v9, 2, v21
	v_lshrrev_b32_e32 v7, 4, v8
	v_lshl_add_u32 v11, v20, 2, v11
	v_add_u32_e32 v5, v10, v5
	v_add_u32_e32 v10, v10, v9
	v_and_b32_e32 v7, 0xffffffe, v7
	v_lshlrev_b32_e32 v13, 3, v21
	v_lshl_add_u32 v15, v20, 3, v11
	v_add_u32_e32 v7, v10, v7
	v_add_u32_e32 v12, v8, v9
	v_lshrrev_b32_e32 v8, 4, v11
	v_add_u32_e32 v14, v10, v13
	v_lshrrev_b32_e32 v10, 4, v15
	v_and_b32_e32 v8, 0xffffffe, v8
	v_lshrrev_b32_e32 v9, 4, v12
	v_add_u32_e32 v12, v12, v13
	v_and_b32_e32 v10, 0xffffffe, v10
	v_lshl_add_u32 v8, v11, 1, v8
	v_and_b32_e32 v9, 0xffffffe, v9
	v_lshl_add_u32 v10, v15, 1, v10
	v_lshlrev_b32_e32 v13, 4, v21
	v_lshrrev_b32_e32 v11, 4, v12
	v_lshl_add_u32 v15, v20, 4, v15
	v_add_u32_e32 v9, v14, v9
	v_add_u32_e32 v14, v14, v13
	v_and_b32_e32 v11, 0xffffffe, v11
	v_lshlrev_b32_e32 v17, 5, v21
	v_lshl_add_u32 v19, v20, 5, v15
	v_add_u32_e32 v11, v14, v11
	v_add_u32_e32 v16, v12, v13
	;; [unrolled: 1-line block ×3, first 2 shown]
	v_lshrrev_b32_e32 v14, 4, v19
	s_load_dwordx4 s[24:27], s[4:5], 0x8
	s_load_dword s30, s[4:5], 0x18
	v_lshrrev_b32_e32 v12, 4, v15
	v_lshrrev_b32_e32 v13, 4, v16
	v_and_b32_e32 v14, 0xffffffe, v14
	v_and_b32_e32 v12, 0xffffffe, v12
	;; [unrolled: 1-line block ×3, first 2 shown]
	v_add_u32_e32 v16, v16, v17
	v_lshl_add_u32 v14, v19, 1, v14
	v_lshlrev_b32_e32 v17, 6, v21
	v_lshl_add_u32 v19, v20, 6, v19
	v_lshl_add_u32 v12, v15, 1, v12
	v_add_u32_e32 v13, v18, v13
	v_add_u32_e32 v18, v18, v17
	v_lshrrev_b32_e32 v15, 4, v16
	v_add_u32_e32 v24, v16, v17
	v_lshrrev_b32_e32 v16, 4, v19
	v_lshlrev_b32_e32 v25, 7, v21
	v_and_b32_e32 v16, 0xffffffe, v16
	v_add_u32_e32 v26, v18, v25
	v_lshrrev_b32_e32 v17, 4, v24
	v_lshl_add_u32 v27, v20, 7, v19
	v_add_u32_e32 v24, v24, v25
	v_lshlrev_b32_e32 v25, 8, v21
	v_or_b32_e32 v2, 0x400, v0
	s_mov_b32 s31, s7
	v_and_b32_e32 v15, 0xffffffe, v15
	v_lshl_add_u32 v16, v19, 1, v16
	v_and_b32_e32 v17, 0xffffffe, v17
	v_lshrrev_b32_e32 v19, 4, v24
	v_lshl_add_u32 v20, v20, 8, v27
	v_add_u32_e32 v24, v24, v25
	v_lshrrev_b32_e32 v1, 4, v0
	v_lshrrev_b32_e32 v2, 4, v2
	;; [unrolled: 1-line block ×3, first 2 shown]
	v_add_u32_e32 v15, v18, v15
	v_add_u32_e32 v17, v26, v17
	v_lshrrev_b32_e32 v18, 4, v27
	v_add_u32_e32 v26, v26, v25
	v_lshrrev_b32_e32 v25, 4, v20
	v_lshrrev_b32_e32 v24, 4, v24
	s_lshl_b64 s[22:23], s[6:7], 12
	s_waitcnt lgkmcnt(0)
	s_lshl_b64 s[34:35], s[30:31], 12
	v_and_b32_e32 v1, 62, v1
	v_and_b32_e32 v2, 0x7e, v2
	;; [unrolled: 1-line block ×3, first 2 shown]
	s_movk_i32 s2, 0x200
	s_movk_i32 s4, 0x100
	;; [unrolled: 1-line block ×3, first 2 shown]
	v_and_b32_e32 v18, 0xffffffe, v18
	v_and_b32_e32 v19, 0xffffffe, v19
	;; [unrolled: 1-line block ×3, first 2 shown]
	v_lshlrev_b32_e32 v21, 9, v21
	v_and_b32_e32 v24, 0xffffffe, v24
	s_add_u32 s24, s24, 0x800
	v_add_u32_e32 v1, v22, v1
	v_add_u32_e32 v2, v22, v2
	v_cmp_eq_u32_e64 s[0:1], 0, v0
	v_add3_u32 v3, v22, v22, v23
	v_cmp_gt_u32_e64 s[2:3], s2, v0
	v_cmp_gt_u32_e64 s[4:5], s4, v0
	;; [unrolled: 1-line block ×8, first 2 shown]
	v_lshl_add_u32 v18, v27, 1, v18
	v_add_u32_e32 v19, v26, v19
	v_cmp_gt_u32_e64 s[20:21], 2, v0
	v_lshl_add_u32 v20, v20, 1, v25
	v_add3_u32 v21, v26, v21, v24
	v_lshl_add_u32 v0, v0, 2, v23
	v_or_b32_e32 v22, s22, v22
	v_mov_b32_e32 v23, s23
	s_addc_u32 s25, s25, 0
	v_mov_b32_e32 v24, 0
	s_branch .LBB35_3
.LBB35_2:                               ;   in Loop: Header=BB35_3 Depth=1
	s_or_b64 exec, exec, s[22:23]
	s_waitcnt lgkmcnt(0)
	s_barrier
	ds_read_u16 v25, v0 offset:2
	ds_read_u16 v26, v0
	s_add_u32 s6, s6, s30
	s_addc_u32 s7, s7, 0
	s_waitcnt lgkmcnt(1)
	ds_write_b16 v0, v25
	s_waitcnt lgkmcnt(1)
	v_add_u16_e32 v25, v25, v26
	ds_write_b16 v0, v25 offset:2
	s_waitcnt lgkmcnt(0)
	s_barrier
	ds_read_u16 v27, v1
	ds_read_u16 v28, v2 offset:2048
	v_mov_b32_e32 v26, s25
	v_add_co_u32_e32 v25, vcc, s24, v22
	v_addc_co_u32_e32 v26, vcc, v26, v23, vcc
	s_waitcnt lgkmcnt(1)
	global_store_short v[25:26], v27, off offset:-2048
	s_waitcnt lgkmcnt(0)
	global_store_short v[25:26], v28, off
	v_mov_b32_e32 v25, s28
	v_mov_b32_e32 v26, s29
	v_cmp_ge_i64_e32 vcc, s[6:7], v[25:26]
	v_mov_b32_e32 v27, s35
	v_add_co_u32_e64 v22, s[22:23], s34, v22
	v_addc_co_u32_e64 v23, s[22:23], v23, v27, s[22:23]
	s_cbranch_vccnz .LBB35_45
.LBB35_3:                               ; =>This Inner Loop Header: Depth=1
	v_mov_b32_e32 v26, s27
	v_add_co_u32_e32 v25, vcc, s26, v22
	v_addc_co_u32_e32 v26, vcc, v26, v23, vcc
	global_load_ushort v27, v[25:26], off
	global_load_ushort v28, v[25:26], off offset:2048
	s_waitcnt vmcnt(1)
	ds_write_b16 v1, v27
	s_waitcnt vmcnt(0)
	ds_write_b16 v2, v28 offset:2048
	s_waitcnt lgkmcnt(0)
	s_barrier
	ds_read_u16 v25, v3
	ds_read_u16 v26, v3 offset:2
	s_waitcnt lgkmcnt(0)
	v_add_u16_e32 v25, v26, v25
	ds_write_b16 v3, v25 offset:2
	s_waitcnt lgkmcnt(0)
	s_barrier
	s_and_saveexec_b64 s[22:23], s[2:3]
	s_cbranch_execz .LBB35_5
; %bb.4:                                ;   in Loop: Header=BB35_3 Depth=1
	ds_read_u16 v25, v4
	ds_read_u16 v26, v5
	s_waitcnt lgkmcnt(0)
	v_add_u16_e32 v25, v26, v25
	ds_write_b16 v5, v25
.LBB35_5:                               ;   in Loop: Header=BB35_3 Depth=1
	s_or_b64 exec, exec, s[22:23]
	s_waitcnt lgkmcnt(0)
	s_barrier
	s_and_saveexec_b64 s[22:23], s[4:5]
	s_cbranch_execz .LBB35_7
; %bb.6:                                ;   in Loop: Header=BB35_3 Depth=1
	ds_read_u16 v25, v6
	ds_read_u16 v26, v7
	s_waitcnt lgkmcnt(0)
	v_add_u16_e32 v25, v26, v25
	ds_write_b16 v7, v25
.LBB35_7:                               ;   in Loop: Header=BB35_3 Depth=1
	s_or_b64 exec, exec, s[22:23]
	;; [unrolled: 12-line block ×3, first 2 shown]
	s_waitcnt lgkmcnt(0)
	s_barrier
	s_and_saveexec_b64 s[22:23], s[10:11]
	s_cbranch_execz .LBB35_11
; %bb.10:                               ;   in Loop: Header=BB35_3 Depth=1
	ds_read_u16 v25, v10
	ds_read_u16 v26, v11
	s_waitcnt lgkmcnt(0)
	v_add_u16_e32 v25, v26, v25
	ds_write_b16 v11, v25
.LBB35_11:                              ;   in Loop: Header=BB35_3 Depth=1
	s_or_b64 exec, exec, s[22:23]
	s_waitcnt lgkmcnt(0)
	s_barrier
	s_and_saveexec_b64 s[22:23], s[12:13]
	s_cbranch_execz .LBB35_13
; %bb.12:                               ;   in Loop: Header=BB35_3 Depth=1
	ds_read_u16 v25, v12
	ds_read_u16 v26, v13
	s_waitcnt lgkmcnt(0)
	v_add_u16_e32 v25, v26, v25
	ds_write_b16 v13, v25
.LBB35_13:                              ;   in Loop: Header=BB35_3 Depth=1
	s_or_b64 exec, exec, s[22:23]
	;; [unrolled: 12-line block ×6, first 2 shown]
	s_waitcnt lgkmcnt(0)
	s_barrier
	s_and_saveexec_b64 s[22:23], s[0:1]
	s_cbranch_execz .LBB35_23
; %bb.22:                               ;   in Loop: Header=BB35_3 Depth=1
	ds_read_u16 v25, v24 offset:2108
	ds_read_u16 v26, v24 offset:4220
	s_waitcnt lgkmcnt(0)
	v_add_u32_e32 v25, v26, v25
	ds_write_b16 v24, v25 offset:4220
.LBB35_23:                              ;   in Loop: Header=BB35_3 Depth=1
	s_or_b64 exec, exec, s[22:23]
	s_and_saveexec_b64 s[22:23], s[0:1]
; %bb.24:                               ;   in Loop: Header=BB35_3 Depth=1
	ds_write_b16 v24, v24 offset:4220
; %bb.25:                               ;   in Loop: Header=BB35_3 Depth=1
	s_or_b64 exec, exec, s[22:23]
	s_waitcnt lgkmcnt(0)
	s_barrier
	s_and_saveexec_b64 s[22:23], s[0:1]
	s_cbranch_execz .LBB35_27
; %bb.26:                               ;   in Loop: Header=BB35_3 Depth=1
	ds_read_u16 v25, v24 offset:4220
	ds_read_u16 v26, v24 offset:2108
	s_waitcnt lgkmcnt(1)
	ds_write_b16 v24, v25 offset:2108
	s_waitcnt lgkmcnt(1)
	v_add_u32_e32 v25, v25, v26
	ds_write_b16 v24, v25 offset:4220
.LBB35_27:                              ;   in Loop: Header=BB35_3 Depth=1
	s_or_b64 exec, exec, s[22:23]
	s_waitcnt lgkmcnt(0)
	s_barrier
	s_and_saveexec_b64 s[22:23], s[20:21]
	s_cbranch_execz .LBB35_29
; %bb.28:                               ;   in Loop: Header=BB35_3 Depth=1
	ds_read_u16 v25, v21
	ds_read_u16 v26, v20
	s_waitcnt lgkmcnt(1)
	ds_write_b16 v20, v25
	s_waitcnt lgkmcnt(1)
	v_add_u16_e32 v25, v25, v26
	ds_write_b16 v21, v25
.LBB35_29:                              ;   in Loop: Header=BB35_3 Depth=1
	s_or_b64 exec, exec, s[22:23]
	s_waitcnt lgkmcnt(0)
	s_barrier
	s_and_saveexec_b64 s[22:23], s[18:19]
	s_cbranch_execz .LBB35_31
; %bb.30:                               ;   in Loop: Header=BB35_3 Depth=1
	ds_read_u16 v25, v19
	ds_read_u16 v26, v18
	s_waitcnt lgkmcnt(1)
	ds_write_b16 v18, v25
	s_waitcnt lgkmcnt(1)
	v_add_u16_e32 v25, v25, v26
	ds_write_b16 v19, v25
.LBB35_31:                              ;   in Loop: Header=BB35_3 Depth=1
	;; [unrolled: 14-line block ×8, first 2 shown]
	s_or_b64 exec, exec, s[22:23]
	s_waitcnt lgkmcnt(0)
	s_barrier
	s_and_saveexec_b64 s[22:23], s[2:3]
	s_cbranch_execz .LBB35_2
; %bb.44:                               ;   in Loop: Header=BB35_3 Depth=1
	ds_read_u16 v25, v5
	ds_read_u16 v26, v4
	s_waitcnt lgkmcnt(1)
	ds_write_b16 v4, v25
	s_waitcnt lgkmcnt(1)
	v_add_u16_e32 v25, v25, v26
	ds_write_b16 v5, v25
	s_branch .LBB35_2
.LBB35_45:
	s_endpgm
	.section	.rodata,"a",@progbits
	.p2align	6, 0x0
	.amdhsa_kernel _Z9scan_bcaoIsLi2048EEvlPT_PKS0_
		.amdhsa_group_segment_fixed_size 8192
		.amdhsa_private_segment_fixed_size 0
		.amdhsa_kernarg_size 280
		.amdhsa_user_sgpr_count 6
		.amdhsa_user_sgpr_private_segment_buffer 1
		.amdhsa_user_sgpr_dispatch_ptr 0
		.amdhsa_user_sgpr_queue_ptr 0
		.amdhsa_user_sgpr_kernarg_segment_ptr 1
		.amdhsa_user_sgpr_dispatch_id 0
		.amdhsa_user_sgpr_flat_scratch_init 0
		.amdhsa_user_sgpr_private_segment_size 0
		.amdhsa_uses_dynamic_stack 0
		.amdhsa_system_sgpr_private_segment_wavefront_offset 0
		.amdhsa_system_sgpr_workgroup_id_x 1
		.amdhsa_system_sgpr_workgroup_id_y 0
		.amdhsa_system_sgpr_workgroup_id_z 0
		.amdhsa_system_sgpr_workgroup_info 0
		.amdhsa_system_vgpr_workitem_id 0
		.amdhsa_next_free_vgpr 29
		.amdhsa_next_free_sgpr 61
		.amdhsa_reserve_vcc 1
		.amdhsa_reserve_flat_scratch 0
		.amdhsa_float_round_mode_32 0
		.amdhsa_float_round_mode_16_64 0
		.amdhsa_float_denorm_mode_32 3
		.amdhsa_float_denorm_mode_16_64 3
		.amdhsa_dx10_clamp 1
		.amdhsa_ieee_mode 1
		.amdhsa_fp16_overflow 0
		.amdhsa_exception_fp_ieee_invalid_op 0
		.amdhsa_exception_fp_denorm_src 0
		.amdhsa_exception_fp_ieee_div_zero 0
		.amdhsa_exception_fp_ieee_overflow 0
		.amdhsa_exception_fp_ieee_underflow 0
		.amdhsa_exception_fp_ieee_inexact 0
		.amdhsa_exception_int_div_zero 0
	.end_amdhsa_kernel
	.section	.text._Z9scan_bcaoIsLi2048EEvlPT_PKS0_,"axG",@progbits,_Z9scan_bcaoIsLi2048EEvlPT_PKS0_,comdat
.Lfunc_end35:
	.size	_Z9scan_bcaoIsLi2048EEvlPT_PKS0_, .Lfunc_end35-_Z9scan_bcaoIsLi2048EEvlPT_PKS0_
                                        ; -- End function
	.set _Z9scan_bcaoIsLi2048EEvlPT_PKS0_.num_vgpr, 29
	.set _Z9scan_bcaoIsLi2048EEvlPT_PKS0_.num_agpr, 0
	.set _Z9scan_bcaoIsLi2048EEvlPT_PKS0_.numbered_sgpr, 36
	.set _Z9scan_bcaoIsLi2048EEvlPT_PKS0_.num_named_barrier, 0
	.set _Z9scan_bcaoIsLi2048EEvlPT_PKS0_.private_seg_size, 0
	.set _Z9scan_bcaoIsLi2048EEvlPT_PKS0_.uses_vcc, 1
	.set _Z9scan_bcaoIsLi2048EEvlPT_PKS0_.uses_flat_scratch, 0
	.set _Z9scan_bcaoIsLi2048EEvlPT_PKS0_.has_dyn_sized_stack, 0
	.set _Z9scan_bcaoIsLi2048EEvlPT_PKS0_.has_recursion, 0
	.set _Z9scan_bcaoIsLi2048EEvlPT_PKS0_.has_indirect_call, 0
	.section	.AMDGPU.csdata,"",@progbits
; Kernel info:
; codeLenInByte = 2192
; TotalNumSgprs: 40
; NumVgprs: 29
; ScratchSize: 0
; MemoryBound: 0
; FloatMode: 240
; IeeeMode: 1
; LDSByteSize: 8192 bytes/workgroup (compile time only)
; SGPRBlocks: 8
; VGPRBlocks: 7
; NumSGPRsForWavesPerEU: 65
; NumVGPRsForWavesPerEU: 29
; Occupancy: 8
; WaveLimiterHint : 1
; COMPUTE_PGM_RSRC2:SCRATCH_EN: 0
; COMPUTE_PGM_RSRC2:USER_SGPR: 6
; COMPUTE_PGM_RSRC2:TRAP_HANDLER: 0
; COMPUTE_PGM_RSRC2:TGID_X_EN: 1
; COMPUTE_PGM_RSRC2:TGID_Y_EN: 0
; COMPUTE_PGM_RSRC2:TGID_Z_EN: 0
; COMPUTE_PGM_RSRC2:TIDIG_COMP_CNT: 0
	.section	.text._Z4scanIiLi2048EEvlPT_PKS0_,"axG",@progbits,_Z4scanIiLi2048EEvlPT_PKS0_,comdat
	.protected	_Z4scanIiLi2048EEvlPT_PKS0_ ; -- Begin function _Z4scanIiLi2048EEvlPT_PKS0_
	.globl	_Z4scanIiLi2048EEvlPT_PKS0_
	.p2align	8
	.type	_Z4scanIiLi2048EEvlPT_PKS0_,@function
_Z4scanIiLi2048EEvlPT_PKS0_:            ; @_Z4scanIiLi2048EEvlPT_PKS0_
; %bb.0:
	s_load_dwordx2 s[22:23], s[4:5], 0x0
	s_mov_b32 s7, 0
	v_mov_b32_e32 v1, s6
	v_mov_b32_e32 v2, s7
	s_waitcnt lgkmcnt(0)
	v_cmp_le_i64_e32 vcc, s[22:23], v[1:2]
	s_cbranch_vccnz .LBB36_45
; %bb.1:
	v_lshlrev_b32_e32 v1, 1, v0
	v_or_b32_e32 v19, 1, v1
	v_add_u32_e32 v1, 2, v1
	v_lshlrev_b32_e32 v6, 3, v1
	v_add_u32_e32 v4, -4, v6
	v_lshlrev_b32_e32 v5, 3, v19
	v_add_u32_e32 v6, v4, v6
	s_load_dwordx4 s[24:27], s[4:5], 0x8
	s_load_dword s28, s[4:5], 0x18
	v_add_u32_e32 v3, -4, v5
	v_lshl_add_u32 v8, v1, 4, v6
	v_add_u32_e32 v5, v3, v5
	v_lshl_add_u32 v10, v1, 5, v8
	v_lshl_add_u32 v7, v19, 4, v5
	;; [unrolled: 1-line block ×5, first 2 shown]
	v_lshlrev_b32_e32 v2, 3, v0
	s_mov_b32 s29, s7
	v_lshl_add_u32 v11, v19, 6, v9
	v_lshl_add_u32 v16, v1, 8, v14
	s_lshl_b64 s[30:31], s[6:7], 13
	s_movk_i32 s2, 0x200
	s_movk_i32 s4, 0x100
	;; [unrolled: 1-line block ×3, first 2 shown]
	v_lshl_add_u32 v13, v19, 7, v11
	v_lshl_add_u32 v18, v1, 9, v16
	v_or_b32_e32 v21, s30, v2
	v_mov_b32_e32 v22, s31
	s_waitcnt lgkmcnt(0)
	s_lshl_b64 s[30:31], s[28:29], 13
	v_cmp_eq_u32_e64 s[0:1], 0, v0
	v_cmp_gt_u32_e64 s[2:3], s2, v0
	v_cmp_gt_u32_e64 s[4:5], s4, v0
	;; [unrolled: 1-line block ×7, first 2 shown]
	v_lshl_add_u32 v15, v19, 8, v13
	v_cmp_gt_u32_e64 s[18:19], 4, v0
	v_cmp_gt_u32_e64 s[20:21], 2, v0
	v_lshl_add_u32 v20, v1, 10, v18
	s_add_u32 s24, s24, 4
	v_mov_b32_e32 v0, s22
	v_lshl_add_u32 v17, v19, 9, v15
	s_addc_u32 s25, s25, 0
	v_mov_b32_e32 v1, s23
	s_movk_i32 s22, 0xfc
	v_lshl_add_u32 v19, v19, 10, v17
	v_mov_b32_e32 v23, s27
	v_mov_b32_e32 v24, 0
	;; [unrolled: 1-line block ×4, first 2 shown]
	v_add_u32_e64 v27, s22, 0
	s_branch .LBB36_3
.LBB36_2:                               ;   in Loop: Header=BB36_3 Depth=1
	s_or_b64 exec, exec, s[22:23]
	s_waitcnt lgkmcnt(0)
	s_barrier
	ds_read_b64 v[28:29], v2
	v_add_co_u32_e32 v31, vcc, s24, v21
	s_add_u32 s6, s6, s28
	v_addc_co_u32_e32 v32, vcc, v25, v22, vcc
	s_addc_u32 s7, s7, 0
	v_cmp_ge_i64_e32 vcc, s[6:7], v[0:1]
	v_add_co_u32_e64 v21, s[22:23], s30, v21
	s_waitcnt lgkmcnt(0)
	v_add_u32_e32 v30, v29, v28
	v_addc_co_u32_e64 v22, s[22:23], v22, v26, s[22:23]
	ds_write_b64 v2, v[29:30]
	global_store_dwordx2 v[31:32], v[29:30], off offset:-4
	s_cbranch_vccnz .LBB36_45
.LBB36_3:                               ; =>This Inner Loop Header: Depth=1
	v_add_co_u32_e32 v28, vcc, s26, v21
	v_addc_co_u32_e32 v29, vcc, v23, v22, vcc
	global_load_dwordx2 v[28:29], v[28:29], off
	s_waitcnt vmcnt(0)
	ds_write_b64 v2, v[28:29]
	s_waitcnt lgkmcnt(0)
	s_barrier
	ds_read_b64 v[28:29], v2
	s_waitcnt lgkmcnt(0)
	v_add_u32_e32 v28, v29, v28
	ds_write_b32 v2, v28 offset:4
	s_waitcnt lgkmcnt(0)
	s_barrier
	s_and_saveexec_b64 s[22:23], s[2:3]
	s_cbranch_execz .LBB36_5
; %bb.4:                                ;   in Loop: Header=BB36_3 Depth=1
	ds_read_b32 v28, v3
	ds_read_b32 v29, v4
	s_waitcnt lgkmcnt(0)
	v_add_u32_e32 v28, v29, v28
	ds_write_b32 v4, v28
.LBB36_5:                               ;   in Loop: Header=BB36_3 Depth=1
	s_or_b64 exec, exec, s[22:23]
	s_waitcnt lgkmcnt(0)
	s_barrier
	s_and_saveexec_b64 s[22:23], s[4:5]
	s_cbranch_execz .LBB36_7
; %bb.6:                                ;   in Loop: Header=BB36_3 Depth=1
	ds_read_b32 v28, v5
	ds_read_b32 v29, v6
	s_waitcnt lgkmcnt(0)
	v_add_u32_e32 v28, v29, v28
	ds_write_b32 v6, v28
.LBB36_7:                               ;   in Loop: Header=BB36_3 Depth=1
	s_or_b64 exec, exec, s[22:23]
	;; [unrolled: 12-line block ×3, first 2 shown]
	s_waitcnt lgkmcnt(0)
	s_barrier
	s_and_saveexec_b64 s[22:23], s[10:11]
	s_cbranch_execz .LBB36_11
; %bb.10:                               ;   in Loop: Header=BB36_3 Depth=1
	ds_read_b32 v28, v9
	ds_read_b32 v29, v10
	s_waitcnt lgkmcnt(0)
	v_add_u32_e32 v28, v29, v28
	ds_write_b32 v10, v28
.LBB36_11:                              ;   in Loop: Header=BB36_3 Depth=1
	s_or_b64 exec, exec, s[22:23]
	s_waitcnt lgkmcnt(0)
	s_barrier
	s_and_saveexec_b64 s[22:23], s[12:13]
	s_cbranch_execz .LBB36_13
; %bb.12:                               ;   in Loop: Header=BB36_3 Depth=1
	ds_read_b32 v28, v11
	ds_read_b32 v29, v12
	s_waitcnt lgkmcnt(0)
	v_add_u32_e32 v28, v29, v28
	ds_write_b32 v12, v28
.LBB36_13:                              ;   in Loop: Header=BB36_3 Depth=1
	s_or_b64 exec, exec, s[22:23]
	s_waitcnt lgkmcnt(0)
	s_barrier
	s_and_saveexec_b64 s[22:23], s[14:15]
	s_cbranch_execz .LBB36_15
; %bb.14:                               ;   in Loop: Header=BB36_3 Depth=1
	ds_read_b32 v28, v13
	ds_read_b32 v29, v14
	s_waitcnt lgkmcnt(0)
	v_add_u32_e32 v28, v29, v28
	ds_write_b32 v14, v28
.LBB36_15:                              ;   in Loop: Header=BB36_3 Depth=1
	s_or_b64 exec, exec, s[22:23]
	s_waitcnt lgkmcnt(0)
	s_barrier
	s_and_saveexec_b64 s[22:23], s[16:17]
	s_cbranch_execz .LBB36_17
; %bb.16:                               ;   in Loop: Header=BB36_3 Depth=1
	ds_read_b32 v28, v15
	ds_read_b32 v29, v16
	s_waitcnt lgkmcnt(0)
	v_add_u32_e32 v28, v29, v28
	ds_write_b32 v16, v28
.LBB36_17:                              ;   in Loop: Header=BB36_3 Depth=1
	s_or_b64 exec, exec, s[22:23]
	s_waitcnt lgkmcnt(0)
	s_barrier
	s_and_saveexec_b64 s[22:23], s[18:19]
	s_cbranch_execz .LBB36_19
; %bb.18:                               ;   in Loop: Header=BB36_3 Depth=1
	ds_read_b32 v28, v17
	ds_read_b32 v29, v18
	s_waitcnt lgkmcnt(0)
	v_add_u32_e32 v28, v29, v28
	ds_write_b32 v18, v28
.LBB36_19:                              ;   in Loop: Header=BB36_3 Depth=1
	s_or_b64 exec, exec, s[22:23]
	s_waitcnt lgkmcnt(0)
	s_barrier
	s_and_saveexec_b64 s[22:23], s[20:21]
	s_cbranch_execz .LBB36_21
; %bb.20:                               ;   in Loop: Header=BB36_3 Depth=1
	ds_read_b32 v28, v19
	ds_read_b32 v29, v20
	s_waitcnt lgkmcnt(0)
	v_add_u32_e32 v28, v29, v28
	ds_write_b32 v20, v28
.LBB36_21:                              ;   in Loop: Header=BB36_3 Depth=1
	s_or_b64 exec, exec, s[22:23]
	s_waitcnt lgkmcnt(0)
	s_barrier
	s_and_saveexec_b64 s[22:23], s[0:1]
	s_cbranch_execz .LBB36_23
; %bb.22:                               ;   in Loop: Header=BB36_3 Depth=1
	ds_read2st64_b32 v[28:29], v27 offset0:15 offset1:31
	s_waitcnt lgkmcnt(0)
	v_add_u32_e32 v28, v29, v28
	ds_write_b32 v24, v28 offset:8188
.LBB36_23:                              ;   in Loop: Header=BB36_3 Depth=1
	s_or_b64 exec, exec, s[22:23]
	s_and_saveexec_b64 s[22:23], s[0:1]
; %bb.24:                               ;   in Loop: Header=BB36_3 Depth=1
	ds_write_b32 v24, v24 offset:8188
; %bb.25:                               ;   in Loop: Header=BB36_3 Depth=1
	s_or_b64 exec, exec, s[22:23]
	s_waitcnt lgkmcnt(0)
	s_barrier
	s_and_saveexec_b64 s[22:23], s[0:1]
	s_cbranch_execz .LBB36_27
; %bb.26:                               ;   in Loop: Header=BB36_3 Depth=1
	ds_read2st64_b32 v[28:29], v27 offset0:15 offset1:31
	s_waitcnt lgkmcnt(0)
	v_add_u32_e32 v28, v29, v28
	ds_write2st64_b32 v27, v29, v28 offset0:15 offset1:31
.LBB36_27:                              ;   in Loop: Header=BB36_3 Depth=1
	s_or_b64 exec, exec, s[22:23]
	s_waitcnt lgkmcnt(0)
	s_barrier
	s_and_saveexec_b64 s[22:23], s[20:21]
	s_cbranch_execz .LBB36_29
; %bb.28:                               ;   in Loop: Header=BB36_3 Depth=1
	ds_read_b32 v28, v20
	ds_read_b32 v29, v19
	s_waitcnt lgkmcnt(1)
	ds_write_b32 v19, v28
	s_waitcnt lgkmcnt(1)
	v_add_u32_e32 v28, v28, v29
	ds_write_b32 v20, v28
.LBB36_29:                              ;   in Loop: Header=BB36_3 Depth=1
	s_or_b64 exec, exec, s[22:23]
	s_waitcnt lgkmcnt(0)
	s_barrier
	s_and_saveexec_b64 s[22:23], s[18:19]
	s_cbranch_execz .LBB36_31
; %bb.30:                               ;   in Loop: Header=BB36_3 Depth=1
	ds_read_b32 v28, v18
	ds_read_b32 v29, v17
	s_waitcnt lgkmcnt(1)
	ds_write_b32 v17, v28
	s_waitcnt lgkmcnt(1)
	v_add_u32_e32 v28, v28, v29
	ds_write_b32 v18, v28
.LBB36_31:                              ;   in Loop: Header=BB36_3 Depth=1
	;; [unrolled: 14-line block ×8, first 2 shown]
	s_or_b64 exec, exec, s[22:23]
	s_waitcnt lgkmcnt(0)
	s_barrier
	s_and_saveexec_b64 s[22:23], s[2:3]
	s_cbranch_execz .LBB36_2
; %bb.44:                               ;   in Loop: Header=BB36_3 Depth=1
	ds_read_b32 v28, v4
	ds_read_b32 v29, v3
	s_waitcnt lgkmcnt(1)
	ds_write_b32 v3, v28
	s_waitcnt lgkmcnt(1)
	v_add_u32_e32 v28, v28, v29
	ds_write_b32 v4, v28
	s_branch .LBB36_2
.LBB36_45:
	s_endpgm
	.section	.rodata,"a",@progbits
	.p2align	6, 0x0
	.amdhsa_kernel _Z4scanIiLi2048EEvlPT_PKS0_
		.amdhsa_group_segment_fixed_size 8192
		.amdhsa_private_segment_fixed_size 0
		.amdhsa_kernarg_size 280
		.amdhsa_user_sgpr_count 6
		.amdhsa_user_sgpr_private_segment_buffer 1
		.amdhsa_user_sgpr_dispatch_ptr 0
		.amdhsa_user_sgpr_queue_ptr 0
		.amdhsa_user_sgpr_kernarg_segment_ptr 1
		.amdhsa_user_sgpr_dispatch_id 0
		.amdhsa_user_sgpr_flat_scratch_init 0
		.amdhsa_user_sgpr_private_segment_size 0
		.amdhsa_uses_dynamic_stack 0
		.amdhsa_system_sgpr_private_segment_wavefront_offset 0
		.amdhsa_system_sgpr_workgroup_id_x 1
		.amdhsa_system_sgpr_workgroup_id_y 0
		.amdhsa_system_sgpr_workgroup_id_z 0
		.amdhsa_system_sgpr_workgroup_info 0
		.amdhsa_system_vgpr_workitem_id 0
		.amdhsa_next_free_vgpr 33
		.amdhsa_next_free_sgpr 61
		.amdhsa_reserve_vcc 1
		.amdhsa_reserve_flat_scratch 0
		.amdhsa_float_round_mode_32 0
		.amdhsa_float_round_mode_16_64 0
		.amdhsa_float_denorm_mode_32 3
		.amdhsa_float_denorm_mode_16_64 3
		.amdhsa_dx10_clamp 1
		.amdhsa_ieee_mode 1
		.amdhsa_fp16_overflow 0
		.amdhsa_exception_fp_ieee_invalid_op 0
		.amdhsa_exception_fp_denorm_src 0
		.amdhsa_exception_fp_ieee_div_zero 0
		.amdhsa_exception_fp_ieee_overflow 0
		.amdhsa_exception_fp_ieee_underflow 0
		.amdhsa_exception_fp_ieee_inexact 0
		.amdhsa_exception_int_div_zero 0
	.end_amdhsa_kernel
	.section	.text._Z4scanIiLi2048EEvlPT_PKS0_,"axG",@progbits,_Z4scanIiLi2048EEvlPT_PKS0_,comdat
.Lfunc_end36:
	.size	_Z4scanIiLi2048EEvlPT_PKS0_, .Lfunc_end36-_Z4scanIiLi2048EEvlPT_PKS0_
                                        ; -- End function
	.set _Z4scanIiLi2048EEvlPT_PKS0_.num_vgpr, 33
	.set _Z4scanIiLi2048EEvlPT_PKS0_.num_agpr, 0
	.set _Z4scanIiLi2048EEvlPT_PKS0_.numbered_sgpr, 32
	.set _Z4scanIiLi2048EEvlPT_PKS0_.num_named_barrier, 0
	.set _Z4scanIiLi2048EEvlPT_PKS0_.private_seg_size, 0
	.set _Z4scanIiLi2048EEvlPT_PKS0_.uses_vcc, 1
	.set _Z4scanIiLi2048EEvlPT_PKS0_.uses_flat_scratch, 0
	.set _Z4scanIiLi2048EEvlPT_PKS0_.has_dyn_sized_stack, 0
	.set _Z4scanIiLi2048EEvlPT_PKS0_.has_recursion, 0
	.set _Z4scanIiLi2048EEvlPT_PKS0_.has_indirect_call, 0
	.section	.AMDGPU.csdata,"",@progbits
; Kernel info:
; codeLenInByte = 1660
; TotalNumSgprs: 36
; NumVgprs: 33
; ScratchSize: 0
; MemoryBound: 0
; FloatMode: 240
; IeeeMode: 1
; LDSByteSize: 8192 bytes/workgroup (compile time only)
; SGPRBlocks: 8
; VGPRBlocks: 8
; NumSGPRsForWavesPerEU: 65
; NumVGPRsForWavesPerEU: 33
; Occupancy: 7
; WaveLimiterHint : 0
; COMPUTE_PGM_RSRC2:SCRATCH_EN: 0
; COMPUTE_PGM_RSRC2:USER_SGPR: 6
; COMPUTE_PGM_RSRC2:TRAP_HANDLER: 0
; COMPUTE_PGM_RSRC2:TGID_X_EN: 1
; COMPUTE_PGM_RSRC2:TGID_Y_EN: 0
; COMPUTE_PGM_RSRC2:TGID_Z_EN: 0
; COMPUTE_PGM_RSRC2:TIDIG_COMP_CNT: 0
	.section	.text._Z9scan_bcaoIiLi2048EEvlPT_PKS0_,"axG",@progbits,_Z9scan_bcaoIiLi2048EEvlPT_PKS0_,comdat
	.protected	_Z9scan_bcaoIiLi2048EEvlPT_PKS0_ ; -- Begin function _Z9scan_bcaoIiLi2048EEvlPT_PKS0_
	.globl	_Z9scan_bcaoIiLi2048EEvlPT_PKS0_
	.p2align	8
	.type	_Z9scan_bcaoIiLi2048EEvlPT_PKS0_,@function
_Z9scan_bcaoIiLi2048EEvlPT_PKS0_:       ; @_Z9scan_bcaoIiLi2048EEvlPT_PKS0_
; %bb.0:
	s_load_dwordx2 s[28:29], s[4:5], 0x0
	s_mov_b32 s7, 0
	v_mov_b32_e32 v1, s6
	v_mov_b32_e32 v2, s7
	s_waitcnt lgkmcnt(0)
	v_cmp_le_i64_e32 vcc, s[28:29], v[1:2]
	s_cbranch_vccnz .LBB37_45
; %bb.1:
	v_lshlrev_b32_e32 v3, 1, v0
	v_or_b32_e32 v20, 1, v3
	v_add_u32_e32 v21, 2, v3
	v_lshlrev_b32_e32 v6, 1, v20
	v_lshlrev_b32_e32 v8, 1, v21
	v_add_u32_e32 v7, -1, v6
	v_add_u32_e32 v9, -1, v8
	v_lshrrev_b32_e32 v5, 3, v9
	v_add_u32_e32 v11, v7, v6
	v_lshrrev_b32_e32 v4, 3, v7
	v_lshlrev_b32_e32 v10, 2, v9
	v_and_b32_e32 v5, 0x1ffffffc, v5
	v_lshrrev_b32_e32 v6, 3, v11
	v_lshlrev_b32_e32 v12, 3, v21
	v_and_b32_e32 v4, 0x1fc, v4
	v_add_u32_e32 v5, v10, v5
	v_add_u32_e32 v8, v9, v8
	v_and_b32_e32 v6, 0x1ffffffc, v6
	v_add_u32_e32 v9, v10, v12
	v_lshl_add_u32 v10, v20, 2, v11
	v_lshl_add_u32 v4, v7, 2, v4
	;; [unrolled: 1-line block ×3, first 2 shown]
	v_lshrrev_b32_e32 v7, 3, v8
	v_lshl_add_u32 v11, v21, 2, v8
	v_lshrrev_b32_e32 v8, 3, v10
	v_and_b32_e32 v8, 0x1ffffffc, v8
	v_lshl_add_u32 v15, v20, 3, v10
	v_and_b32_e32 v7, 0x1ffffffc, v7
	v_lshl_add_u32 v8, v10, 2, v8
	v_lshlrev_b32_e32 v13, 4, v21
	v_lshrrev_b32_e32 v10, 3, v15
	v_add_u32_e32 v7, v9, v7
	v_add_u32_e32 v14, v9, v13
	v_lshrrev_b32_e32 v9, 3, v11
	v_add_u32_e32 v12, v11, v12
	v_and_b32_e32 v10, 0x1ffffffc, v10
	v_and_b32_e32 v9, 0x1ffffffc, v9
	v_lshl_add_u32 v10, v15, 2, v10
	v_lshlrev_b32_e32 v16, 5, v21
	v_lshrrev_b32_e32 v11, 3, v12
	v_lshl_add_u32 v15, v20, 4, v15
	v_add_u32_e32 v17, v12, v13
	v_add_u32_e32 v9, v14, v9
	;; [unrolled: 1-line block ×3, first 2 shown]
	v_and_b32_e32 v11, 0x1ffffffc, v11
	v_lshrrev_b32_e32 v12, 3, v15
	v_lshlrev_b32_e32 v18, 6, v21
	v_lshrrev_b32_e32 v13, 3, v17
	v_lshl_add_u32 v24, v20, 5, v15
	v_add_u32_e32 v11, v14, v11
	v_and_b32_e32 v12, 0x1ffffffc, v12
	v_add_u32_e32 v19, v14, v18
	v_and_b32_e32 v13, 0x1ffffffc, v13
	v_add_u32_e32 v16, v17, v16
	v_lshrrev_b32_e32 v14, 3, v24
	v_lshlrev_b32_e32 v25, 7, v21
	s_load_dwordx4 s[24:27], s[4:5], 0x8
	s_load_dword s30, s[4:5], 0x18
	v_lshl_add_u32 v12, v15, 2, v12
	v_add_u32_e32 v13, v19, v13
	v_and_b32_e32 v14, 0x1ffffffc, v14
	v_add_u32_e32 v17, v19, v25
	v_lshrrev_b32_e32 v15, 3, v16
	v_lshl_add_u32 v19, v20, 6, v24
	v_add_u32_e32 v18, v16, v18
	v_lshl_add_u32 v14, v24, 2, v14
	v_and_b32_e32 v15, 0x1ffffffc, v15
	v_lshrrev_b32_e32 v16, 3, v19
	v_lshlrev_b32_e32 v24, 8, v21
	v_lshl_add_u32 v27, v20, 7, v19
	v_add_u32_e32 v25, v18, v25
	v_or_b32_e32 v2, 0x400, v0
	v_add_u32_e32 v15, v17, v15
	v_and_b32_e32 v16, 0x1ffffffc, v16
	v_add_u32_e32 v26, v17, v24
	v_lshrrev_b32_e32 v17, 3, v18
	v_lshl_add_u32 v20, v20, 8, v27
	v_add_u32_e32 v24, v25, v24
	v_lshrrev_b32_e32 v1, 3, v0
	v_lshrrev_b32_e32 v2, 3, v2
	;; [unrolled: 1-line block ×3, first 2 shown]
	v_lshl_add_u32 v16, v19, 2, v16
	v_and_b32_e32 v17, 0x1ffffffc, v17
	v_lshrrev_b32_e32 v18, 3, v27
	v_lshrrev_b32_e32 v19, 3, v25
	;; [unrolled: 1-line block ×4, first 2 shown]
	v_lshlrev_b32_e32 v22, 2, v0
	v_and_b32_e32 v1, 0x7c, v1
	v_and_b32_e32 v2, 0xfc, v2
	s_mov_b32 s31, s7
	v_and_b32_e32 v23, 0xfc, v3
	s_movk_i32 s2, 0x200
	s_movk_i32 s4, 0x100
	s_movk_i32 s8, 0x80
	v_add_u32_e32 v17, v26, v17
	v_and_b32_e32 v18, 0x1ffffffc, v18
	v_lshl_add_u32 v26, v21, 9, v26
	v_and_b32_e32 v19, 0x1ffffffc, v19
	v_and_b32_e32 v25, 0x1ffffffc, v25
	v_lshlrev_b32_e32 v21, 10, v21
	v_and_b32_e32 v24, 0x1ffffffc, v24
	s_lshl_b64 s[22:23], s[6:7], 13
	v_add_u32_e32 v1, v22, v1
	v_add_u32_e32 v2, v22, v2
	v_cmp_eq_u32_e64 s[0:1], 0, v0
	v_add3_u32 v3, v22, v22, v23
	v_cmp_gt_u32_e64 s[2:3], s2, v0
	v_cmp_gt_u32_e64 s[4:5], s4, v0
	;; [unrolled: 1-line block ×8, first 2 shown]
	v_lshl_add_u32 v18, v27, 2, v18
	v_add_u32_e32 v19, v26, v19
	v_cmp_gt_u32_e64 s[20:21], 2, v0
	v_lshl_add_u32 v20, v20, 2, v25
	v_add3_u32 v21, v26, v21, v24
	v_lshl_add_u32 v0, v0, 3, v23
	v_or_b32_e32 v22, s22, v22
	v_mov_b32_e32 v23, s23
	s_waitcnt lgkmcnt(0)
	s_lshl_b64 s[34:35], s[30:31], 13
	s_movk_i32 s31, 0x1000
	v_mov_b32_e32 v24, 0
	s_branch .LBB37_3
.LBB37_2:                               ;   in Loop: Header=BB37_3 Depth=1
	s_or_b64 exec, exec, s[22:23]
	s_waitcnt lgkmcnt(0)
	s_barrier
	ds_read2_b32 v[25:26], v0 offset1:1
	s_add_u32 s6, s6, s30
	s_addc_u32 s7, s7, 0
	s_waitcnt lgkmcnt(0)
	v_add_u32_e32 v25, v26, v25
	ds_write2_b32 v0, v26, v25 offset1:1
	s_waitcnt lgkmcnt(0)
	s_barrier
	ds_read_b32 v27, v1
	ds_read_b32 v28, v2 offset:4096
	v_mov_b32_e32 v26, s25
	v_add_co_u32_e32 v25, vcc, s24, v22
	v_addc_co_u32_e32 v26, vcc, v26, v23, vcc
	s_waitcnt lgkmcnt(1)
	global_store_dword v[25:26], v27, off
	v_add_co_u32_e32 v25, vcc, s31, v25
	v_addc_co_u32_e32 v26, vcc, 0, v26, vcc
	s_waitcnt lgkmcnt(0)
	global_store_dword v[25:26], v28, off
	v_mov_b32_e32 v25, s28
	v_mov_b32_e32 v26, s29
	v_cmp_ge_i64_e32 vcc, s[6:7], v[25:26]
	v_mov_b32_e32 v27, s35
	v_add_co_u32_e64 v22, s[22:23], s34, v22
	v_addc_co_u32_e64 v23, s[22:23], v23, v27, s[22:23]
	s_cbranch_vccnz .LBB37_45
.LBB37_3:                               ; =>This Inner Loop Header: Depth=1
	v_mov_b32_e32 v26, s27
	v_add_co_u32_e32 v25, vcc, s26, v22
	v_addc_co_u32_e32 v26, vcc, v26, v23, vcc
	v_add_co_u32_e32 v27, vcc, 0x1000, v25
	v_addc_co_u32_e32 v28, vcc, 0, v26, vcc
	global_load_dword v29, v[25:26], off
	global_load_dword v30, v[27:28], off
	s_waitcnt vmcnt(1)
	ds_write_b32 v1, v29
	s_waitcnt vmcnt(0)
	ds_write_b32 v2, v30 offset:4096
	s_waitcnt lgkmcnt(0)
	s_barrier
	ds_read2_b32 v[25:26], v3 offset1:1
	s_waitcnt lgkmcnt(0)
	v_add_u32_e32 v25, v26, v25
	ds_write_b32 v3, v25 offset:4
	s_waitcnt lgkmcnt(0)
	s_barrier
	s_and_saveexec_b64 s[22:23], s[2:3]
	s_cbranch_execz .LBB37_5
; %bb.4:                                ;   in Loop: Header=BB37_3 Depth=1
	ds_read_b32 v25, v4
	ds_read_b32 v26, v5
	s_waitcnt lgkmcnt(0)
	v_add_u32_e32 v25, v26, v25
	ds_write_b32 v5, v25
.LBB37_5:                               ;   in Loop: Header=BB37_3 Depth=1
	s_or_b64 exec, exec, s[22:23]
	s_waitcnt lgkmcnt(0)
	s_barrier
	s_and_saveexec_b64 s[22:23], s[4:5]
	s_cbranch_execz .LBB37_7
; %bb.6:                                ;   in Loop: Header=BB37_3 Depth=1
	ds_read_b32 v25, v6
	ds_read_b32 v26, v7
	s_waitcnt lgkmcnt(0)
	v_add_u32_e32 v25, v26, v25
	ds_write_b32 v7, v25
.LBB37_7:                               ;   in Loop: Header=BB37_3 Depth=1
	s_or_b64 exec, exec, s[22:23]
	;; [unrolled: 12-line block ×3, first 2 shown]
	s_waitcnt lgkmcnt(0)
	s_barrier
	s_and_saveexec_b64 s[22:23], s[10:11]
	s_cbranch_execz .LBB37_11
; %bb.10:                               ;   in Loop: Header=BB37_3 Depth=1
	ds_read_b32 v25, v10
	ds_read_b32 v26, v11
	s_waitcnt lgkmcnt(0)
	v_add_u32_e32 v25, v26, v25
	ds_write_b32 v11, v25
.LBB37_11:                              ;   in Loop: Header=BB37_3 Depth=1
	s_or_b64 exec, exec, s[22:23]
	s_waitcnt lgkmcnt(0)
	s_barrier
	s_and_saveexec_b64 s[22:23], s[12:13]
	s_cbranch_execz .LBB37_13
; %bb.12:                               ;   in Loop: Header=BB37_3 Depth=1
	ds_read_b32 v25, v12
	ds_read_b32 v26, v13
	s_waitcnt lgkmcnt(0)
	v_add_u32_e32 v25, v26, v25
	ds_write_b32 v13, v25
.LBB37_13:                              ;   in Loop: Header=BB37_3 Depth=1
	s_or_b64 exec, exec, s[22:23]
	s_waitcnt lgkmcnt(0)
	s_barrier
	s_and_saveexec_b64 s[22:23], s[14:15]
	s_cbranch_execz .LBB37_15
; %bb.14:                               ;   in Loop: Header=BB37_3 Depth=1
	ds_read_b32 v25, v14
	ds_read_b32 v26, v15
	s_waitcnt lgkmcnt(0)
	v_add_u32_e32 v25, v26, v25
	ds_write_b32 v15, v25
.LBB37_15:                              ;   in Loop: Header=BB37_3 Depth=1
	s_or_b64 exec, exec, s[22:23]
	s_waitcnt lgkmcnt(0)
	s_barrier
	s_and_saveexec_b64 s[22:23], s[16:17]
	s_cbranch_execz .LBB37_17
; %bb.16:                               ;   in Loop: Header=BB37_3 Depth=1
	ds_read_b32 v25, v16
	ds_read_b32 v26, v17
	s_waitcnt lgkmcnt(0)
	v_add_u32_e32 v25, v26, v25
	ds_write_b32 v17, v25
.LBB37_17:                              ;   in Loop: Header=BB37_3 Depth=1
	s_or_b64 exec, exec, s[22:23]
	s_waitcnt lgkmcnt(0)
	s_barrier
	s_and_saveexec_b64 s[22:23], s[18:19]
	s_cbranch_execz .LBB37_19
; %bb.18:                               ;   in Loop: Header=BB37_3 Depth=1
	ds_read_b32 v25, v18
	ds_read_b32 v26, v19
	s_waitcnt lgkmcnt(0)
	v_add_u32_e32 v25, v26, v25
	ds_write_b32 v19, v25
.LBB37_19:                              ;   in Loop: Header=BB37_3 Depth=1
	s_or_b64 exec, exec, s[22:23]
	s_waitcnt lgkmcnt(0)
	s_barrier
	s_and_saveexec_b64 s[22:23], s[20:21]
	s_cbranch_execz .LBB37_21
; %bb.20:                               ;   in Loop: Header=BB37_3 Depth=1
	ds_read_b32 v25, v20
	ds_read_b32 v26, v21
	s_waitcnt lgkmcnt(0)
	v_add_u32_e32 v25, v26, v25
	ds_write_b32 v21, v25
.LBB37_21:                              ;   in Loop: Header=BB37_3 Depth=1
	s_or_b64 exec, exec, s[22:23]
	s_waitcnt lgkmcnt(0)
	s_barrier
	s_and_saveexec_b64 s[22:23], s[0:1]
	s_cbranch_execz .LBB37_23
; %bb.22:                               ;   in Loop: Header=BB37_3 Depth=1
	ds_read_b32 v25, v24 offset:4216
	ds_read_b32 v26, v24 offset:8440
	s_waitcnt lgkmcnt(0)
	v_add_u32_e32 v25, v26, v25
	ds_write_b32 v24, v25 offset:8440
.LBB37_23:                              ;   in Loop: Header=BB37_3 Depth=1
	s_or_b64 exec, exec, s[22:23]
	s_and_saveexec_b64 s[22:23], s[0:1]
; %bb.24:                               ;   in Loop: Header=BB37_3 Depth=1
	ds_write_b32 v24, v24 offset:8440
; %bb.25:                               ;   in Loop: Header=BB37_3 Depth=1
	s_or_b64 exec, exec, s[22:23]
	s_waitcnt lgkmcnt(0)
	s_barrier
	s_and_saveexec_b64 s[22:23], s[0:1]
	s_cbranch_execz .LBB37_27
; %bb.26:                               ;   in Loop: Header=BB37_3 Depth=1
	ds_read_b32 v25, v24 offset:8440
	ds_read_b32 v26, v24 offset:4216
	s_waitcnt lgkmcnt(1)
	ds_write_b32 v24, v25 offset:4216
	s_waitcnt lgkmcnt(1)
	v_add_u32_e32 v25, v25, v26
	ds_write_b32 v24, v25 offset:8440
.LBB37_27:                              ;   in Loop: Header=BB37_3 Depth=1
	s_or_b64 exec, exec, s[22:23]
	s_waitcnt lgkmcnt(0)
	s_barrier
	s_and_saveexec_b64 s[22:23], s[20:21]
	s_cbranch_execz .LBB37_29
; %bb.28:                               ;   in Loop: Header=BB37_3 Depth=1
	ds_read_b32 v25, v21
	ds_read_b32 v26, v20
	s_waitcnt lgkmcnt(1)
	ds_write_b32 v20, v25
	s_waitcnt lgkmcnt(1)
	v_add_u32_e32 v25, v25, v26
	ds_write_b32 v21, v25
.LBB37_29:                              ;   in Loop: Header=BB37_3 Depth=1
	s_or_b64 exec, exec, s[22:23]
	s_waitcnt lgkmcnt(0)
	s_barrier
	s_and_saveexec_b64 s[22:23], s[18:19]
	s_cbranch_execz .LBB37_31
; %bb.30:                               ;   in Loop: Header=BB37_3 Depth=1
	ds_read_b32 v25, v19
	ds_read_b32 v26, v18
	s_waitcnt lgkmcnt(1)
	ds_write_b32 v18, v25
	s_waitcnt lgkmcnt(1)
	v_add_u32_e32 v25, v25, v26
	ds_write_b32 v19, v25
.LBB37_31:                              ;   in Loop: Header=BB37_3 Depth=1
	;; [unrolled: 14-line block ×8, first 2 shown]
	s_or_b64 exec, exec, s[22:23]
	s_waitcnt lgkmcnt(0)
	s_barrier
	s_and_saveexec_b64 s[22:23], s[2:3]
	s_cbranch_execz .LBB37_2
; %bb.44:                               ;   in Loop: Header=BB37_3 Depth=1
	ds_read_b32 v25, v5
	ds_read_b32 v26, v4
	s_waitcnt lgkmcnt(1)
	ds_write_b32 v4, v25
	s_waitcnt lgkmcnt(1)
	v_add_u32_e32 v25, v25, v26
	ds_write_b32 v5, v25
	s_branch .LBB37_2
.LBB37_45:
	s_endpgm
	.section	.rodata,"a",@progbits
	.p2align	6, 0x0
	.amdhsa_kernel _Z9scan_bcaoIiLi2048EEvlPT_PKS0_
		.amdhsa_group_segment_fixed_size 16384
		.amdhsa_private_segment_fixed_size 0
		.amdhsa_kernarg_size 280
		.amdhsa_user_sgpr_count 6
		.amdhsa_user_sgpr_private_segment_buffer 1
		.amdhsa_user_sgpr_dispatch_ptr 0
		.amdhsa_user_sgpr_queue_ptr 0
		.amdhsa_user_sgpr_kernarg_segment_ptr 1
		.amdhsa_user_sgpr_dispatch_id 0
		.amdhsa_user_sgpr_flat_scratch_init 0
		.amdhsa_user_sgpr_private_segment_size 0
		.amdhsa_uses_dynamic_stack 0
		.amdhsa_system_sgpr_private_segment_wavefront_offset 0
		.amdhsa_system_sgpr_workgroup_id_x 1
		.amdhsa_system_sgpr_workgroup_id_y 0
		.amdhsa_system_sgpr_workgroup_id_z 0
		.amdhsa_system_sgpr_workgroup_info 0
		.amdhsa_system_vgpr_workitem_id 0
		.amdhsa_next_free_vgpr 31
		.amdhsa_next_free_sgpr 61
		.amdhsa_reserve_vcc 1
		.amdhsa_reserve_flat_scratch 0
		.amdhsa_float_round_mode_32 0
		.amdhsa_float_round_mode_16_64 0
		.amdhsa_float_denorm_mode_32 3
		.amdhsa_float_denorm_mode_16_64 3
		.amdhsa_dx10_clamp 1
		.amdhsa_ieee_mode 1
		.amdhsa_fp16_overflow 0
		.amdhsa_exception_fp_ieee_invalid_op 0
		.amdhsa_exception_fp_denorm_src 0
		.amdhsa_exception_fp_ieee_div_zero 0
		.amdhsa_exception_fp_ieee_overflow 0
		.amdhsa_exception_fp_ieee_underflow 0
		.amdhsa_exception_fp_ieee_inexact 0
		.amdhsa_exception_int_div_zero 0
	.end_amdhsa_kernel
	.section	.text._Z9scan_bcaoIiLi2048EEvlPT_PKS0_,"axG",@progbits,_Z9scan_bcaoIiLi2048EEvlPT_PKS0_,comdat
.Lfunc_end37:
	.size	_Z9scan_bcaoIiLi2048EEvlPT_PKS0_, .Lfunc_end37-_Z9scan_bcaoIiLi2048EEvlPT_PKS0_
                                        ; -- End function
	.set _Z9scan_bcaoIiLi2048EEvlPT_PKS0_.num_vgpr, 31
	.set _Z9scan_bcaoIiLi2048EEvlPT_PKS0_.num_agpr, 0
	.set _Z9scan_bcaoIiLi2048EEvlPT_PKS0_.numbered_sgpr, 36
	.set _Z9scan_bcaoIiLi2048EEvlPT_PKS0_.num_named_barrier, 0
	.set _Z9scan_bcaoIiLi2048EEvlPT_PKS0_.private_seg_size, 0
	.set _Z9scan_bcaoIiLi2048EEvlPT_PKS0_.uses_vcc, 1
	.set _Z9scan_bcaoIiLi2048EEvlPT_PKS0_.uses_flat_scratch, 0
	.set _Z9scan_bcaoIiLi2048EEvlPT_PKS0_.has_dyn_sized_stack, 0
	.set _Z9scan_bcaoIiLi2048EEvlPT_PKS0_.has_recursion, 0
	.set _Z9scan_bcaoIiLi2048EEvlPT_PKS0_.has_indirect_call, 0
	.section	.AMDGPU.csdata,"",@progbits
; Kernel info:
; codeLenInByte = 2188
; TotalNumSgprs: 40
; NumVgprs: 31
; ScratchSize: 0
; MemoryBound: 0
; FloatMode: 240
; IeeeMode: 1
; LDSByteSize: 16384 bytes/workgroup (compile time only)
; SGPRBlocks: 8
; VGPRBlocks: 7
; NumSGPRsForWavesPerEU: 65
; NumVGPRsForWavesPerEU: 31
; Occupancy: 8
; WaveLimiterHint : 1
; COMPUTE_PGM_RSRC2:SCRATCH_EN: 0
; COMPUTE_PGM_RSRC2:USER_SGPR: 6
; COMPUTE_PGM_RSRC2:TRAP_HANDLER: 0
; COMPUTE_PGM_RSRC2:TGID_X_EN: 1
; COMPUTE_PGM_RSRC2:TGID_Y_EN: 0
; COMPUTE_PGM_RSRC2:TGID_Z_EN: 0
; COMPUTE_PGM_RSRC2:TIDIG_COMP_CNT: 0
	.section	.text._Z4scanIlLi2048EEvlPT_PKS0_,"axG",@progbits,_Z4scanIlLi2048EEvlPT_PKS0_,comdat
	.protected	_Z4scanIlLi2048EEvlPT_PKS0_ ; -- Begin function _Z4scanIlLi2048EEvlPT_PKS0_
	.globl	_Z4scanIlLi2048EEvlPT_PKS0_
	.p2align	8
	.type	_Z4scanIlLi2048EEvlPT_PKS0_,@function
_Z4scanIlLi2048EEvlPT_PKS0_:            ; @_Z4scanIlLi2048EEvlPT_PKS0_
; %bb.0:
	s_load_dwordx2 s[28:29], s[4:5], 0x0
	s_mov_b32 s7, 0
	v_mov_b32_e32 v1, s6
	v_mov_b32_e32 v2, s7
	s_waitcnt lgkmcnt(0)
	v_cmp_le_i64_e32 vcc, s[28:29], v[1:2]
	s_cbranch_vccnz .LBB38_45
; %bb.1:
	v_lshlrev_b32_e32 v1, 1, v0
	v_or_b32_e32 v19, 1, v1
	v_add_u32_e32 v1, 2, v1
	v_lshlrev_b32_e32 v5, 4, v19
	v_lshlrev_b32_e32 v6, 4, v1
	v_add_u32_e32 v3, -8, v5
	v_add_u32_e32 v4, -8, v6
	s_load_dwordx4 s[24:27], s[4:5], 0x8
	s_load_dword s30, s[4:5], 0x18
	v_add_u32_e32 v5, v3, v5
	v_add_u32_e32 v6, v4, v6
	v_lshl_add_u32 v7, v19, 5, v5
	v_lshl_add_u32 v8, v1, 5, v6
	;; [unrolled: 1-line block ×6, first 2 shown]
	s_mov_b32 s31, s7
	v_lshl_add_u32 v13, v19, 8, v11
	v_lshl_add_u32 v14, v1, 8, v12
	;; [unrolled: 1-line block ×4, first 2 shown]
	s_lshl_b64 s[22:23], s[6:7], 14
	s_waitcnt lgkmcnt(0)
	s_lshl_b64 s[34:35], s[30:31], 14
	v_lshlrev_b32_e32 v2, 4, v0
	s_movk_i32 s2, 0x200
	s_movk_i32 s4, 0x100
	;; [unrolled: 1-line block ×3, first 2 shown]
	v_lshl_add_u32 v17, v19, 10, v15
	v_lshl_add_u32 v18, v1, 10, v16
	s_add_u32 s24, s24, 8
	v_cmp_eq_u32_e64 s[0:1], 0, v0
	v_cmp_gt_u32_e64 s[2:3], s2, v0
	v_cmp_gt_u32_e64 s[4:5], s4, v0
	;; [unrolled: 1-line block ×9, first 2 shown]
	v_lshl_add_u32 v19, v19, 11, v17
	v_lshl_add_u32 v20, v1, 11, v18
	v_or_b32_e32 v21, s22, v2
	v_mov_b32_e32 v22, s23
	s_addc_u32 s25, s25, 0
	v_mov_b32_e32 v23, s27
	v_mov_b32_e32 v0, 0
	s_movk_i32 s27, 0x1f8
	s_branch .LBB38_3
.LBB38_2:                               ;   in Loop: Header=BB38_3 Depth=1
	s_or_b64 exec, exec, s[22:23]
	s_waitcnt lgkmcnt(0)
	s_barrier
	ds_read_b128 v[24:27], v2
	v_mov_b32_e32 v1, s25
	s_add_u32 s6, s6, s30
	s_addc_u32 s7, s7, 0
	s_waitcnt lgkmcnt(0)
	v_add_co_u32_e32 v28, vcc, v26, v24
	v_addc_co_u32_e32 v29, vcc, v27, v25, vcc
	v_add_co_u32_e32 v24, vcc, s24, v21
	v_addc_co_u32_e32 v25, vcc, v1, v22, vcc
	global_store_dwordx4 v[24:25], v[26:29], off offset:-8
	v_mov_b32_e32 v24, s28
	v_mov_b32_e32 v25, s29
	v_cmp_ge_i64_e32 vcc, s[6:7], v[24:25]
	v_mov_b32_e32 v1, s35
	v_add_co_u32_e64 v21, s[22:23], s34, v21
	v_addc_co_u32_e64 v22, s[22:23], v22, v1, s[22:23]
	ds_write_b128 v2, v[26:29]
	s_cbranch_vccnz .LBB38_45
.LBB38_3:                               ; =>This Inner Loop Header: Depth=1
	v_add_co_u32_e32 v24, vcc, s26, v21
	v_addc_co_u32_e32 v25, vcc, v23, v22, vcc
	global_load_dwordx4 v[24:27], v[24:25], off
	s_waitcnt vmcnt(0)
	ds_write_b128 v2, v[24:27]
	s_waitcnt lgkmcnt(0)
	s_barrier
	ds_read_b128 v[24:27], v2
	s_waitcnt lgkmcnt(0)
	v_add_co_u32_e32 v24, vcc, v26, v24
	v_addc_co_u32_e32 v25, vcc, v27, v25, vcc
	ds_write_b64 v2, v[24:25] offset:8
	s_waitcnt lgkmcnt(0)
	s_barrier
	s_and_saveexec_b64 s[22:23], s[2:3]
	s_cbranch_execz .LBB38_5
; %bb.4:                                ;   in Loop: Header=BB38_3 Depth=1
	ds_read_b64 v[24:25], v3
	ds_read_b64 v[26:27], v4
	s_waitcnt lgkmcnt(0)
	v_add_co_u32_e32 v24, vcc, v26, v24
	v_addc_co_u32_e32 v25, vcc, v27, v25, vcc
	ds_write_b64 v4, v[24:25]
.LBB38_5:                               ;   in Loop: Header=BB38_3 Depth=1
	s_or_b64 exec, exec, s[22:23]
	s_waitcnt lgkmcnt(0)
	s_barrier
	s_and_saveexec_b64 s[22:23], s[4:5]
	s_cbranch_execz .LBB38_7
; %bb.6:                                ;   in Loop: Header=BB38_3 Depth=1
	ds_read_b64 v[24:25], v5
	ds_read_b64 v[26:27], v6
	s_waitcnt lgkmcnt(0)
	v_add_co_u32_e32 v24, vcc, v26, v24
	v_addc_co_u32_e32 v25, vcc, v27, v25, vcc
	ds_write_b64 v6, v[24:25]
.LBB38_7:                               ;   in Loop: Header=BB38_3 Depth=1
	s_or_b64 exec, exec, s[22:23]
	;; [unrolled: 13-line block ×3, first 2 shown]
	s_waitcnt lgkmcnt(0)
	s_barrier
	s_and_saveexec_b64 s[22:23], s[10:11]
	s_cbranch_execz .LBB38_11
; %bb.10:                               ;   in Loop: Header=BB38_3 Depth=1
	ds_read_b64 v[24:25], v9
	ds_read_b64 v[26:27], v10
	s_waitcnt lgkmcnt(0)
	v_add_co_u32_e32 v24, vcc, v26, v24
	v_addc_co_u32_e32 v25, vcc, v27, v25, vcc
	ds_write_b64 v10, v[24:25]
.LBB38_11:                              ;   in Loop: Header=BB38_3 Depth=1
	s_or_b64 exec, exec, s[22:23]
	s_waitcnt lgkmcnt(0)
	s_barrier
	s_and_saveexec_b64 s[22:23], s[12:13]
	s_cbranch_execz .LBB38_13
; %bb.12:                               ;   in Loop: Header=BB38_3 Depth=1
	ds_read_b64 v[24:25], v11
	ds_read_b64 v[26:27], v12
	s_waitcnt lgkmcnt(0)
	v_add_co_u32_e32 v24, vcc, v26, v24
	v_addc_co_u32_e32 v25, vcc, v27, v25, vcc
	ds_write_b64 v12, v[24:25]
.LBB38_13:                              ;   in Loop: Header=BB38_3 Depth=1
	s_or_b64 exec, exec, s[22:23]
	;; [unrolled: 13-line block ×6, first 2 shown]
	v_add_u32_e64 v24, s27, 0
	s_waitcnt lgkmcnt(0)
	s_barrier
	s_and_saveexec_b64 s[22:23], s[0:1]
	s_cbranch_execz .LBB38_23
; %bb.22:                               ;   in Loop: Header=BB38_3 Depth=1
	ds_read2st64_b64 v[25:28], v24 offset0:15 offset1:31
	s_waitcnt lgkmcnt(0)
	v_add_co_u32_e32 v25, vcc, v27, v25
	v_addc_co_u32_e32 v26, vcc, v28, v26, vcc
	ds_write_b64 v0, v[25:26] offset:16376
.LBB38_23:                              ;   in Loop: Header=BB38_3 Depth=1
	s_or_b64 exec, exec, s[22:23]
	s_and_saveexec_b64 s[22:23], s[0:1]
; %bb.24:                               ;   in Loop: Header=BB38_3 Depth=1
	v_mov_b32_e32 v1, v0
	ds_write_b64 v0, v[0:1] offset:16376
; %bb.25:                               ;   in Loop: Header=BB38_3 Depth=1
	s_or_b64 exec, exec, s[22:23]
	s_waitcnt lgkmcnt(0)
	s_barrier
	s_and_saveexec_b64 s[22:23], s[0:1]
	s_cbranch_execz .LBB38_27
; %bb.26:                               ;   in Loop: Header=BB38_3 Depth=1
	ds_read2st64_b64 v[25:28], v24 offset0:15 offset1:31
	s_waitcnt lgkmcnt(0)
	v_add_co_u32_e32 v25, vcc, v27, v25
	v_addc_co_u32_e32 v26, vcc, v28, v26, vcc
	ds_write2st64_b64 v24, v[27:28], v[25:26] offset0:15 offset1:31
.LBB38_27:                              ;   in Loop: Header=BB38_3 Depth=1
	s_or_b64 exec, exec, s[22:23]
	s_waitcnt lgkmcnt(0)
	s_barrier
	s_and_saveexec_b64 s[22:23], s[20:21]
	s_cbranch_execz .LBB38_29
; %bb.28:                               ;   in Loop: Header=BB38_3 Depth=1
	ds_read_b64 v[24:25], v20
	ds_read_b64 v[26:27], v19
	s_waitcnt lgkmcnt(1)
	ds_write_b64 v19, v[24:25]
	s_waitcnt lgkmcnt(1)
	v_add_co_u32_e32 v24, vcc, v24, v26
	v_addc_co_u32_e32 v25, vcc, v25, v27, vcc
	ds_write_b64 v20, v[24:25]
.LBB38_29:                              ;   in Loop: Header=BB38_3 Depth=1
	s_or_b64 exec, exec, s[22:23]
	s_waitcnt lgkmcnt(0)
	s_barrier
	s_and_saveexec_b64 s[22:23], s[18:19]
	s_cbranch_execz .LBB38_31
; %bb.30:                               ;   in Loop: Header=BB38_3 Depth=1
	ds_read_b64 v[24:25], v18
	ds_read_b64 v[26:27], v17
	s_waitcnt lgkmcnt(1)
	ds_write_b64 v17, v[24:25]
	s_waitcnt lgkmcnt(1)
	v_add_co_u32_e32 v24, vcc, v24, v26
	v_addc_co_u32_e32 v25, vcc, v25, v27, vcc
	ds_write_b64 v18, v[24:25]
.LBB38_31:                              ;   in Loop: Header=BB38_3 Depth=1
	;; [unrolled: 15-line block ×8, first 2 shown]
	s_or_b64 exec, exec, s[22:23]
	s_waitcnt lgkmcnt(0)
	s_barrier
	s_and_saveexec_b64 s[22:23], s[2:3]
	s_cbranch_execz .LBB38_2
; %bb.44:                               ;   in Loop: Header=BB38_3 Depth=1
	ds_read_b64 v[24:25], v4
	ds_read_b64 v[26:27], v3
	s_waitcnt lgkmcnt(1)
	ds_write_b64 v3, v[24:25]
	s_waitcnt lgkmcnt(1)
	v_add_co_u32_e32 v24, vcc, v24, v26
	v_addc_co_u32_e32 v25, vcc, v25, v27, vcc
	ds_write_b64 v4, v[24:25]
	s_branch .LBB38_2
.LBB38_45:
	s_endpgm
	.section	.rodata,"a",@progbits
	.p2align	6, 0x0
	.amdhsa_kernel _Z4scanIlLi2048EEvlPT_PKS0_
		.amdhsa_group_segment_fixed_size 16384
		.amdhsa_private_segment_fixed_size 0
		.amdhsa_kernarg_size 280
		.amdhsa_user_sgpr_count 6
		.amdhsa_user_sgpr_private_segment_buffer 1
		.amdhsa_user_sgpr_dispatch_ptr 0
		.amdhsa_user_sgpr_queue_ptr 0
		.amdhsa_user_sgpr_kernarg_segment_ptr 1
		.amdhsa_user_sgpr_dispatch_id 0
		.amdhsa_user_sgpr_flat_scratch_init 0
		.amdhsa_user_sgpr_private_segment_size 0
		.amdhsa_uses_dynamic_stack 0
		.amdhsa_system_sgpr_private_segment_wavefront_offset 0
		.amdhsa_system_sgpr_workgroup_id_x 1
		.amdhsa_system_sgpr_workgroup_id_y 0
		.amdhsa_system_sgpr_workgroup_id_z 0
		.amdhsa_system_sgpr_workgroup_info 0
		.amdhsa_system_vgpr_workitem_id 0
		.amdhsa_next_free_vgpr 30
		.amdhsa_next_free_sgpr 61
		.amdhsa_reserve_vcc 1
		.amdhsa_reserve_flat_scratch 0
		.amdhsa_float_round_mode_32 0
		.amdhsa_float_round_mode_16_64 0
		.amdhsa_float_denorm_mode_32 3
		.amdhsa_float_denorm_mode_16_64 3
		.amdhsa_dx10_clamp 1
		.amdhsa_ieee_mode 1
		.amdhsa_fp16_overflow 0
		.amdhsa_exception_fp_ieee_invalid_op 0
		.amdhsa_exception_fp_denorm_src 0
		.amdhsa_exception_fp_ieee_div_zero 0
		.amdhsa_exception_fp_ieee_overflow 0
		.amdhsa_exception_fp_ieee_underflow 0
		.amdhsa_exception_fp_ieee_inexact 0
		.amdhsa_exception_int_div_zero 0
	.end_amdhsa_kernel
	.section	.text._Z4scanIlLi2048EEvlPT_PKS0_,"axG",@progbits,_Z4scanIlLi2048EEvlPT_PKS0_,comdat
.Lfunc_end38:
	.size	_Z4scanIlLi2048EEvlPT_PKS0_, .Lfunc_end38-_Z4scanIlLi2048EEvlPT_PKS0_
                                        ; -- End function
	.set _Z4scanIlLi2048EEvlPT_PKS0_.num_vgpr, 30
	.set _Z4scanIlLi2048EEvlPT_PKS0_.num_agpr, 0
	.set _Z4scanIlLi2048EEvlPT_PKS0_.numbered_sgpr, 36
	.set _Z4scanIlLi2048EEvlPT_PKS0_.num_named_barrier, 0
	.set _Z4scanIlLi2048EEvlPT_PKS0_.private_seg_size, 0
	.set _Z4scanIlLi2048EEvlPT_PKS0_.uses_vcc, 1
	.set _Z4scanIlLi2048EEvlPT_PKS0_.uses_flat_scratch, 0
	.set _Z4scanIlLi2048EEvlPT_PKS0_.has_dyn_sized_stack, 0
	.set _Z4scanIlLi2048EEvlPT_PKS0_.has_recursion, 0
	.set _Z4scanIlLi2048EEvlPT_PKS0_.has_indirect_call, 0
	.section	.AMDGPU.csdata,"",@progbits
; Kernel info:
; codeLenInByte = 1752
; TotalNumSgprs: 40
; NumVgprs: 30
; ScratchSize: 0
; MemoryBound: 0
; FloatMode: 240
; IeeeMode: 1
; LDSByteSize: 16384 bytes/workgroup (compile time only)
; SGPRBlocks: 8
; VGPRBlocks: 7
; NumSGPRsForWavesPerEU: 65
; NumVGPRsForWavesPerEU: 30
; Occupancy: 8
; WaveLimiterHint : 0
; COMPUTE_PGM_RSRC2:SCRATCH_EN: 0
; COMPUTE_PGM_RSRC2:USER_SGPR: 6
; COMPUTE_PGM_RSRC2:TRAP_HANDLER: 0
; COMPUTE_PGM_RSRC2:TGID_X_EN: 1
; COMPUTE_PGM_RSRC2:TGID_Y_EN: 0
; COMPUTE_PGM_RSRC2:TGID_Z_EN: 0
; COMPUTE_PGM_RSRC2:TIDIG_COMP_CNT: 0
	.section	.text._Z9scan_bcaoIlLi2048EEvlPT_PKS0_,"axG",@progbits,_Z9scan_bcaoIlLi2048EEvlPT_PKS0_,comdat
	.protected	_Z9scan_bcaoIlLi2048EEvlPT_PKS0_ ; -- Begin function _Z9scan_bcaoIlLi2048EEvlPT_PKS0_
	.globl	_Z9scan_bcaoIlLi2048EEvlPT_PKS0_
	.p2align	8
	.type	_Z9scan_bcaoIlLi2048EEvlPT_PKS0_,@function
_Z9scan_bcaoIlLi2048EEvlPT_PKS0_:       ; @_Z9scan_bcaoIlLi2048EEvlPT_PKS0_
; %bb.0:
	s_load_dwordx2 s[28:29], s[4:5], 0x0
	s_mov_b32 s7, 0
	v_mov_b32_e32 v1, s6
	v_mov_b32_e32 v2, s7
	s_waitcnt lgkmcnt(0)
	v_cmp_le_i64_e32 vcc, s[28:29], v[1:2]
	s_cbranch_vccnz .LBB39_45
; %bb.1:
	v_or_b32_e32 v1, 0x400, v0
	v_lshrrev_b32_e32 v1, 2, v1
	v_lshlrev_b32_e32 v24, 3, v0
	v_and_b32_e32 v1, 0x1f8, v1
	v_add_u32_e32 v3, v24, v1
	v_lshlrev_b32_e32 v1, 1, v0
	v_or_b32_e32 v21, 1, v1
	v_add_u32_e32 v1, 2, v1
	v_lshlrev_b32_e32 v7, 1, v21
	v_lshlrev_b32_e32 v9, 1, v1
	v_add_u32_e32 v8, -1, v7
	v_add_u32_e32 v10, -1, v9
	v_lshrrev_b32_e32 v6, 2, v10
	v_add_u32_e32 v12, v8, v7
	v_lshrrev_b32_e32 v5, 2, v8
	v_lshlrev_b32_e32 v11, 3, v10
	v_and_b32_e32 v6, 0x3ffffff8, v6
	v_lshrrev_b32_e32 v7, 2, v12
	v_lshlrev_b32_e32 v13, 4, v1
	v_and_b32_e32 v5, 0x3f8, v5
	v_add_u32_e32 v6, v11, v6
	v_add_u32_e32 v9, v10, v9
	v_and_b32_e32 v7, 0x3ffffff8, v7
	v_add_u32_e32 v10, v11, v13
	v_lshl_add_u32 v11, v21, 2, v12
	v_lshl_add_u32 v5, v8, 3, v5
	;; [unrolled: 1-line block ×3, first 2 shown]
	v_lshrrev_b32_e32 v8, 2, v9
	v_lshl_add_u32 v12, v1, 2, v9
	v_lshrrev_b32_e32 v9, 2, v11
	v_and_b32_e32 v9, 0x3ffffff8, v9
	v_lshl_add_u32 v16, v21, 3, v11
	v_and_b32_e32 v8, 0x3ffffff8, v8
	v_lshl_add_u32 v9, v11, 3, v9
	v_lshlrev_b32_e32 v15, 5, v1
	v_lshrrev_b32_e32 v11, 2, v16
	v_add_u32_e32 v8, v10, v8
	v_add_u32_e32 v14, v10, v15
	v_lshrrev_b32_e32 v10, 2, v12
	v_lshl_add_u32 v17, v1, 3, v12
	v_and_b32_e32 v11, 0x3ffffff8, v11
	v_and_b32_e32 v10, 0x3ffffff8, v10
	v_lshl_add_u32 v11, v16, 3, v11
	v_lshlrev_b32_e32 v18, 6, v1
	v_lshrrev_b32_e32 v12, 2, v17
	v_lshl_add_u32 v16, v21, 4, v16
	v_add_u32_e32 v10, v14, v10
	v_add_u32_e32 v14, v14, v18
	v_and_b32_e32 v12, 0x3ffffff8, v12
	v_add_u32_e32 v17, v17, v13
	v_lshlrev_b32_e32 v19, 7, v1
	v_lshl_add_u32 v22, v21, 5, v16
	v_add_u32_e32 v12, v14, v12
	v_add_u32_e32 v20, v14, v19
	v_lshrrev_b32_e32 v14, 2, v17
	v_add_u32_e32 v17, v17, v15
	v_lshrrev_b32_e32 v15, 2, v22
	v_lshrrev_b32_e32 v13, 2, v16
	v_and_b32_e32 v15, 0x3ffffff8, v15
	v_and_b32_e32 v13, 0x3ffffff8, v13
	v_lshl_add_u32 v15, v22, 3, v15
	v_lshl_add_u32 v22, v21, 6, v22
	;; [unrolled: 1-line block ×3, first 2 shown]
	v_lshrrev_b32_e32 v16, 2, v17
	v_add_u32_e32 v26, v17, v18
	v_lshrrev_b32_e32 v17, 2, v22
	v_and_b32_e32 v17, 0x3ffffff8, v17
	v_lshl_add_u32 v17, v22, 3, v17
	v_lshl_add_u32 v22, v21, 7, v22
	s_load_dwordx4 s[24:27], s[4:5], 0x8
	s_load_dword s30, s[4:5], 0x18
	v_and_b32_e32 v14, 0x3ffffff8, v14
	v_lshlrev_b32_e32 v25, 8, v1
	v_lshrrev_b32_e32 v18, 2, v26
	v_add_u32_e32 v26, v26, v19
	v_lshrrev_b32_e32 v19, 2, v22
	v_add_u32_e32 v14, v20, v14
	v_add_u32_e32 v20, v20, v25
	v_and_b32_e32 v16, 0x3ffffff8, v16
	v_and_b32_e32 v19, 0x3ffffff8, v19
	v_add_u32_e32 v16, v20, v16
	v_lshl_add_u32 v20, v1, 9, v20
	v_and_b32_e32 v18, 0x3ffffff8, v18
	v_lshl_add_u32 v19, v22, 3, v19
	v_lshl_add_u32 v21, v21, 8, v22
	v_add_u32_e32 v22, v26, v25
	v_lshrrev_b32_e32 v2, 2, v0
	v_lshrrev_b32_e32 v4, 1, v0
	v_add_u32_e32 v18, v20, v18
	v_lshl_add_u32 v27, v1, 10, v20
	v_lshrrev_b32_e32 v20, 2, v26
	v_lshrrev_b32_e32 v25, 2, v21
	;; [unrolled: 1-line block ×3, first 2 shown]
	v_and_b32_e32 v2, 0xf8, v2
	s_mov_b32 s31, s7
	v_and_b32_e32 v23, 0x1f8, v4
	s_movk_i32 s2, 0x200
	s_movk_i32 s4, 0x100
	;; [unrolled: 1-line block ×3, first 2 shown]
	v_and_b32_e32 v20, 0x3ffffff8, v20
	v_and_b32_e32 v25, 0x3ffffff8, v25
	v_lshlrev_b32_e32 v1, 11, v1
	v_and_b32_e32 v22, 0x3ffffff8, v22
	s_lshl_b64 s[22:23], s[6:7], 14
	v_add_u32_e32 v2, v24, v2
	v_cmp_eq_u32_e64 s[0:1], 0, v0
	v_add3_u32 v4, v24, v24, v23
	v_cmp_gt_u32_e64 s[2:3], s2, v0
	v_cmp_gt_u32_e64 s[4:5], s4, v0
	;; [unrolled: 1-line block ×8, first 2 shown]
	v_add_u32_e32 v20, v27, v20
	v_cmp_gt_u32_e64 s[20:21], 2, v0
	v_lshl_add_u32 v21, v21, 3, v25
	v_add3_u32 v22, v27, v1, v22
	v_lshl_add_u32 v23, v0, 4, v23
	v_or_b32_e32 v24, s22, v24
	v_mov_b32_e32 v25, s23
	s_waitcnt lgkmcnt(0)
	s_lshl_b64 s[34:35], s[30:31], 14
	s_movk_i32 s31, 0x2000
	v_mov_b32_e32 v0, 0
	s_branch .LBB39_3
.LBB39_2:                               ;   in Loop: Header=BB39_3 Depth=1
	s_or_b64 exec, exec, s[22:23]
	s_waitcnt lgkmcnt(0)
	s_barrier
	ds_read2_b64 v[26:29], v23 offset1:1
	v_mov_b32_e32 v1, s25
	s_add_u32 s6, s6, s30
	s_addc_u32 s7, s7, 0
	s_waitcnt lgkmcnt(0)
	v_add_co_u32_e32 v26, vcc, v28, v26
	v_addc_co_u32_e32 v27, vcc, v29, v27, vcc
	ds_write2_b64 v23, v[28:29], v[26:27] offset1:1
	s_waitcnt lgkmcnt(0)
	s_barrier
	ds_read_b64 v[26:27], v2
	ds_read_b64 v[30:31], v3 offset:8192
	v_add_co_u32_e32 v28, vcc, s24, v24
	v_addc_co_u32_e32 v29, vcc, v1, v25, vcc
	s_waitcnt lgkmcnt(1)
	global_store_dwordx2 v[28:29], v[26:27], off
	v_add_co_u32_e32 v26, vcc, s31, v28
	v_addc_co_u32_e32 v27, vcc, 0, v29, vcc
	s_waitcnt lgkmcnt(0)
	global_store_dwordx2 v[26:27], v[30:31], off
	v_mov_b32_e32 v26, s28
	v_mov_b32_e32 v27, s29
	v_cmp_ge_i64_e32 vcc, s[6:7], v[26:27]
	v_mov_b32_e32 v1, s35
	v_add_co_u32_e64 v24, s[22:23], s34, v24
	v_addc_co_u32_e64 v25, s[22:23], v25, v1, s[22:23]
	s_cbranch_vccnz .LBB39_45
.LBB39_3:                               ; =>This Inner Loop Header: Depth=1
	v_mov_b32_e32 v1, s27
	v_add_co_u32_e32 v26, vcc, s26, v24
	v_addc_co_u32_e32 v27, vcc, v1, v25, vcc
	v_add_co_u32_e32 v28, vcc, 0x2000, v26
	v_addc_co_u32_e32 v29, vcc, 0, v27, vcc
	global_load_dwordx2 v[26:27], v[26:27], off
	s_nop 0
	global_load_dwordx2 v[28:29], v[28:29], off
	s_waitcnt vmcnt(1)
	ds_write_b64 v2, v[26:27]
	s_waitcnt vmcnt(0)
	ds_write_b64 v3, v[28:29] offset:8192
	s_waitcnt lgkmcnt(0)
	s_barrier
	ds_read2_b64 v[26:29], v4 offset1:1
	s_waitcnt lgkmcnt(0)
	v_add_co_u32_e32 v26, vcc, v28, v26
	v_addc_co_u32_e32 v27, vcc, v29, v27, vcc
	ds_write_b64 v4, v[26:27] offset:8
	s_waitcnt lgkmcnt(0)
	s_barrier
	s_and_saveexec_b64 s[22:23], s[2:3]
	s_cbranch_execz .LBB39_5
; %bb.4:                                ;   in Loop: Header=BB39_3 Depth=1
	ds_read_b64 v[26:27], v5
	ds_read_b64 v[28:29], v6
	s_waitcnt lgkmcnt(0)
	v_add_co_u32_e32 v26, vcc, v28, v26
	v_addc_co_u32_e32 v27, vcc, v29, v27, vcc
	ds_write_b64 v6, v[26:27]
.LBB39_5:                               ;   in Loop: Header=BB39_3 Depth=1
	s_or_b64 exec, exec, s[22:23]
	s_waitcnt lgkmcnt(0)
	s_barrier
	s_and_saveexec_b64 s[22:23], s[4:5]
	s_cbranch_execz .LBB39_7
; %bb.6:                                ;   in Loop: Header=BB39_3 Depth=1
	ds_read_b64 v[26:27], v7
	ds_read_b64 v[28:29], v8
	s_waitcnt lgkmcnt(0)
	v_add_co_u32_e32 v26, vcc, v28, v26
	v_addc_co_u32_e32 v27, vcc, v29, v27, vcc
	ds_write_b64 v8, v[26:27]
.LBB39_7:                               ;   in Loop: Header=BB39_3 Depth=1
	s_or_b64 exec, exec, s[22:23]
	;; [unrolled: 13-line block ×3, first 2 shown]
	s_waitcnt lgkmcnt(0)
	s_barrier
	s_and_saveexec_b64 s[22:23], s[10:11]
	s_cbranch_execz .LBB39_11
; %bb.10:                               ;   in Loop: Header=BB39_3 Depth=1
	ds_read_b64 v[26:27], v11
	ds_read_b64 v[28:29], v12
	s_waitcnt lgkmcnt(0)
	v_add_co_u32_e32 v26, vcc, v28, v26
	v_addc_co_u32_e32 v27, vcc, v29, v27, vcc
	ds_write_b64 v12, v[26:27]
.LBB39_11:                              ;   in Loop: Header=BB39_3 Depth=1
	s_or_b64 exec, exec, s[22:23]
	s_waitcnt lgkmcnt(0)
	s_barrier
	s_and_saveexec_b64 s[22:23], s[12:13]
	s_cbranch_execz .LBB39_13
; %bb.12:                               ;   in Loop: Header=BB39_3 Depth=1
	ds_read_b64 v[26:27], v13
	ds_read_b64 v[28:29], v14
	s_waitcnt lgkmcnt(0)
	v_add_co_u32_e32 v26, vcc, v28, v26
	v_addc_co_u32_e32 v27, vcc, v29, v27, vcc
	ds_write_b64 v14, v[26:27]
.LBB39_13:                              ;   in Loop: Header=BB39_3 Depth=1
	s_or_b64 exec, exec, s[22:23]
	;; [unrolled: 13-line block ×6, first 2 shown]
	s_waitcnt lgkmcnt(0)
	s_barrier
	s_and_saveexec_b64 s[22:23], s[0:1]
	s_cbranch_execz .LBB39_23
; %bb.22:                               ;   in Loop: Header=BB39_3 Depth=1
	ds_read_b64 v[26:27], v0 offset:8432
	ds_read_b64 v[28:29], v0 offset:16880
	s_waitcnt lgkmcnt(0)
	v_add_co_u32_e32 v26, vcc, v28, v26
	v_addc_co_u32_e32 v27, vcc, v29, v27, vcc
	ds_write_b64 v0, v[26:27] offset:16880
.LBB39_23:                              ;   in Loop: Header=BB39_3 Depth=1
	s_or_b64 exec, exec, s[22:23]
	s_and_saveexec_b64 s[22:23], s[0:1]
; %bb.24:                               ;   in Loop: Header=BB39_3 Depth=1
	v_mov_b32_e32 v1, v0
	ds_write_b64 v0, v[0:1] offset:16880
; %bb.25:                               ;   in Loop: Header=BB39_3 Depth=1
	s_or_b64 exec, exec, s[22:23]
	s_waitcnt lgkmcnt(0)
	s_barrier
	s_and_saveexec_b64 s[22:23], s[0:1]
	s_cbranch_execz .LBB39_27
; %bb.26:                               ;   in Loop: Header=BB39_3 Depth=1
	ds_read_b64 v[26:27], v0 offset:16880
	ds_read_b64 v[28:29], v0 offset:8432
	s_waitcnt lgkmcnt(1)
	ds_write_b64 v0, v[26:27] offset:8432
	s_waitcnt lgkmcnt(1)
	v_add_co_u32_e32 v26, vcc, v26, v28
	v_addc_co_u32_e32 v27, vcc, v27, v29, vcc
	ds_write_b64 v0, v[26:27] offset:16880
.LBB39_27:                              ;   in Loop: Header=BB39_3 Depth=1
	s_or_b64 exec, exec, s[22:23]
	s_waitcnt lgkmcnt(0)
	s_barrier
	s_and_saveexec_b64 s[22:23], s[20:21]
	s_cbranch_execz .LBB39_29
; %bb.28:                               ;   in Loop: Header=BB39_3 Depth=1
	ds_read_b64 v[26:27], v22
	ds_read_b64 v[28:29], v21
	s_waitcnt lgkmcnt(1)
	ds_write_b64 v21, v[26:27]
	s_waitcnt lgkmcnt(1)
	v_add_co_u32_e32 v26, vcc, v26, v28
	v_addc_co_u32_e32 v27, vcc, v27, v29, vcc
	ds_write_b64 v22, v[26:27]
.LBB39_29:                              ;   in Loop: Header=BB39_3 Depth=1
	s_or_b64 exec, exec, s[22:23]
	s_waitcnt lgkmcnt(0)
	s_barrier
	s_and_saveexec_b64 s[22:23], s[18:19]
	s_cbranch_execz .LBB39_31
; %bb.30:                               ;   in Loop: Header=BB39_3 Depth=1
	ds_read_b64 v[26:27], v20
	ds_read_b64 v[28:29], v19
	s_waitcnt lgkmcnt(1)
	ds_write_b64 v19, v[26:27]
	s_waitcnt lgkmcnt(1)
	v_add_co_u32_e32 v26, vcc, v26, v28
	v_addc_co_u32_e32 v27, vcc, v27, v29, vcc
	ds_write_b64 v20, v[26:27]
.LBB39_31:                              ;   in Loop: Header=BB39_3 Depth=1
	;; [unrolled: 15-line block ×8, first 2 shown]
	s_or_b64 exec, exec, s[22:23]
	s_waitcnt lgkmcnt(0)
	s_barrier
	s_and_saveexec_b64 s[22:23], s[2:3]
	s_cbranch_execz .LBB39_2
; %bb.44:                               ;   in Loop: Header=BB39_3 Depth=1
	ds_read_b64 v[26:27], v6
	ds_read_b64 v[28:29], v5
	s_waitcnt lgkmcnt(1)
	ds_write_b64 v5, v[26:27]
	s_waitcnt lgkmcnt(1)
	v_add_co_u32_e32 v26, vcc, v26, v28
	v_addc_co_u32_e32 v27, vcc, v27, v29, vcc
	ds_write_b64 v6, v[26:27]
	s_branch .LBB39_2
.LBB39_45:
	s_endpgm
	.section	.rodata,"a",@progbits
	.p2align	6, 0x0
	.amdhsa_kernel _Z9scan_bcaoIlLi2048EEvlPT_PKS0_
		.amdhsa_group_segment_fixed_size 32768
		.amdhsa_private_segment_fixed_size 0
		.amdhsa_kernarg_size 280
		.amdhsa_user_sgpr_count 6
		.amdhsa_user_sgpr_private_segment_buffer 1
		.amdhsa_user_sgpr_dispatch_ptr 0
		.amdhsa_user_sgpr_queue_ptr 0
		.amdhsa_user_sgpr_kernarg_segment_ptr 1
		.amdhsa_user_sgpr_dispatch_id 0
		.amdhsa_user_sgpr_flat_scratch_init 0
		.amdhsa_user_sgpr_private_segment_size 0
		.amdhsa_uses_dynamic_stack 0
		.amdhsa_system_sgpr_private_segment_wavefront_offset 0
		.amdhsa_system_sgpr_workgroup_id_x 1
		.amdhsa_system_sgpr_workgroup_id_y 0
		.amdhsa_system_sgpr_workgroup_id_z 0
		.amdhsa_system_sgpr_workgroup_info 0
		.amdhsa_system_vgpr_workitem_id 0
		.amdhsa_next_free_vgpr 32
		.amdhsa_next_free_sgpr 61
		.amdhsa_reserve_vcc 1
		.amdhsa_reserve_flat_scratch 0
		.amdhsa_float_round_mode_32 0
		.amdhsa_float_round_mode_16_64 0
		.amdhsa_float_denorm_mode_32 3
		.amdhsa_float_denorm_mode_16_64 3
		.amdhsa_dx10_clamp 1
		.amdhsa_ieee_mode 1
		.amdhsa_fp16_overflow 0
		.amdhsa_exception_fp_ieee_invalid_op 0
		.amdhsa_exception_fp_denorm_src 0
		.amdhsa_exception_fp_ieee_div_zero 0
		.amdhsa_exception_fp_ieee_overflow 0
		.amdhsa_exception_fp_ieee_underflow 0
		.amdhsa_exception_fp_ieee_inexact 0
		.amdhsa_exception_int_div_zero 0
	.end_amdhsa_kernel
	.section	.text._Z9scan_bcaoIlLi2048EEvlPT_PKS0_,"axG",@progbits,_Z9scan_bcaoIlLi2048EEvlPT_PKS0_,comdat
.Lfunc_end39:
	.size	_Z9scan_bcaoIlLi2048EEvlPT_PKS0_, .Lfunc_end39-_Z9scan_bcaoIlLi2048EEvlPT_PKS0_
                                        ; -- End function
	.set _Z9scan_bcaoIlLi2048EEvlPT_PKS0_.num_vgpr, 32
	.set _Z9scan_bcaoIlLi2048EEvlPT_PKS0_.num_agpr, 0
	.set _Z9scan_bcaoIlLi2048EEvlPT_PKS0_.numbered_sgpr, 36
	.set _Z9scan_bcaoIlLi2048EEvlPT_PKS0_.num_named_barrier, 0
	.set _Z9scan_bcaoIlLi2048EEvlPT_PKS0_.private_seg_size, 0
	.set _Z9scan_bcaoIlLi2048EEvlPT_PKS0_.uses_vcc, 1
	.set _Z9scan_bcaoIlLi2048EEvlPT_PKS0_.uses_flat_scratch, 0
	.set _Z9scan_bcaoIlLi2048EEvlPT_PKS0_.has_dyn_sized_stack, 0
	.set _Z9scan_bcaoIlLi2048EEvlPT_PKS0_.has_recursion, 0
	.set _Z9scan_bcaoIlLi2048EEvlPT_PKS0_.has_indirect_call, 0
	.section	.AMDGPU.csdata,"",@progbits
; Kernel info:
; codeLenInByte = 2288
; TotalNumSgprs: 40
; NumVgprs: 32
; ScratchSize: 0
; MemoryBound: 0
; FloatMode: 240
; IeeeMode: 1
; LDSByteSize: 32768 bytes/workgroup (compile time only)
; SGPRBlocks: 8
; VGPRBlocks: 7
; NumSGPRsForWavesPerEU: 65
; NumVGPRsForWavesPerEU: 32
; Occupancy: 8
; WaveLimiterHint : 1
; COMPUTE_PGM_RSRC2:SCRATCH_EN: 0
; COMPUTE_PGM_RSRC2:USER_SGPR: 6
; COMPUTE_PGM_RSRC2:TRAP_HANDLER: 0
; COMPUTE_PGM_RSRC2:TGID_X_EN: 1
; COMPUTE_PGM_RSRC2:TGID_Y_EN: 0
; COMPUTE_PGM_RSRC2:TGID_Z_EN: 0
; COMPUTE_PGM_RSRC2:TIDIG_COMP_CNT: 0
	.section	.AMDGPU.gpr_maximums,"",@progbits
	.set amdgpu.max_num_vgpr, 0
	.set amdgpu.max_num_agpr, 0
	.set amdgpu.max_num_sgpr, 0
	.section	.AMDGPU.csdata,"",@progbits
	.type	__hip_cuid_b7dda8b6315e6b1a,@object ; @__hip_cuid_b7dda8b6315e6b1a
	.section	.bss,"aw",@nobits
	.globl	__hip_cuid_b7dda8b6315e6b1a
__hip_cuid_b7dda8b6315e6b1a:
	.byte	0                               ; 0x0
	.size	__hip_cuid_b7dda8b6315e6b1a, 1

	.ident	"AMD clang version 22.0.0git (https://github.com/RadeonOpenCompute/llvm-project roc-7.2.4 26084 f58b06dce1f9c15707c5f808fd002e18c2accf7e)"
	.section	".note.GNU-stack","",@progbits
	.addrsig
	.addrsig_sym __hip_cuid_b7dda8b6315e6b1a
	.amdgpu_metadata
---
amdhsa.kernels:
  - .args:
      - .offset:         0
        .size:           8
        .value_kind:     by_value
      - .actual_access:  write_only
        .address_space:  global
        .offset:         8
        .size:           8
        .value_kind:     global_buffer
      - .actual_access:  read_only
        .address_space:  global
        .offset:         16
        .size:           8
        .value_kind:     global_buffer
      - .offset:         24
        .size:           4
        .value_kind:     hidden_block_count_x
      - .offset:         28
        .size:           4
        .value_kind:     hidden_block_count_y
      - .offset:         32
        .size:           4
        .value_kind:     hidden_block_count_z
      - .offset:         36
        .size:           2
        .value_kind:     hidden_group_size_x
      - .offset:         38
        .size:           2
        .value_kind:     hidden_group_size_y
      - .offset:         40
        .size:           2
        .value_kind:     hidden_group_size_z
      - .offset:         42
        .size:           2
        .value_kind:     hidden_remainder_x
      - .offset:         44
        .size:           2
        .value_kind:     hidden_remainder_y
      - .offset:         46
        .size:           2
        .value_kind:     hidden_remainder_z
      - .offset:         64
        .size:           8
        .value_kind:     hidden_global_offset_x
      - .offset:         72
        .size:           8
        .value_kind:     hidden_global_offset_y
      - .offset:         80
        .size:           8
        .value_kind:     hidden_global_offset_z
      - .offset:         88
        .size:           2
        .value_kind:     hidden_grid_dims
    .group_segment_fixed_size: 128
    .kernarg_segment_align: 8
    .kernarg_segment_size: 280
    .language:       OpenCL C
    .language_version:
      - 2
      - 0
    .max_flat_workgroup_size: 1024
    .name:           _Z4scanIcLi128EEvlPT_PKS0_
    .private_segment_fixed_size: 0
    .sgpr_count:     34
    .sgpr_spill_count: 0
    .symbol:         _Z4scanIcLi128EEvlPT_PKS0_.kd
    .uniform_work_group_size: 1
    .uses_dynamic_stack: false
    .vgpr_count:     19
    .vgpr_spill_count: 0
    .wavefront_size: 64
  - .args:
      - .offset:         0
        .size:           8
        .value_kind:     by_value
      - .actual_access:  write_only
        .address_space:  global
        .offset:         8
        .size:           8
        .value_kind:     global_buffer
      - .actual_access:  read_only
        .address_space:  global
        .offset:         16
        .size:           8
        .value_kind:     global_buffer
      - .offset:         24
        .size:           4
        .value_kind:     hidden_block_count_x
      - .offset:         28
        .size:           4
        .value_kind:     hidden_block_count_y
      - .offset:         32
        .size:           4
        .value_kind:     hidden_block_count_z
      - .offset:         36
        .size:           2
        .value_kind:     hidden_group_size_x
      - .offset:         38
        .size:           2
        .value_kind:     hidden_group_size_y
      - .offset:         40
        .size:           2
        .value_kind:     hidden_group_size_z
      - .offset:         42
        .size:           2
        .value_kind:     hidden_remainder_x
      - .offset:         44
        .size:           2
        .value_kind:     hidden_remainder_y
      - .offset:         46
        .size:           2
        .value_kind:     hidden_remainder_z
      - .offset:         64
        .size:           8
        .value_kind:     hidden_global_offset_x
      - .offset:         72
        .size:           8
        .value_kind:     hidden_global_offset_y
      - .offset:         80
        .size:           8
        .value_kind:     hidden_global_offset_z
      - .offset:         88
        .size:           2
        .value_kind:     hidden_grid_dims
    .group_segment_fixed_size: 256
    .kernarg_segment_align: 8
    .kernarg_segment_size: 280
    .language:       OpenCL C
    .language_version:
      - 2
      - 0
    .max_flat_workgroup_size: 1024
    .name:           _Z9scan_bcaoIcLi128EEvlPT_PKS0_
    .private_segment_fixed_size: 0
    .sgpr_count:     31
    .sgpr_spill_count: 0
    .symbol:         _Z9scan_bcaoIcLi128EEvlPT_PKS0_.kd
    .uniform_work_group_size: 1
    .uses_dynamic_stack: false
    .vgpr_count:     23
    .vgpr_spill_count: 0
    .wavefront_size: 64
  - .args:
      - .offset:         0
        .size:           8
        .value_kind:     by_value
      - .actual_access:  write_only
        .address_space:  global
        .offset:         8
        .size:           8
        .value_kind:     global_buffer
      - .actual_access:  read_only
        .address_space:  global
        .offset:         16
        .size:           8
        .value_kind:     global_buffer
      - .offset:         24
        .size:           4
        .value_kind:     hidden_block_count_x
      - .offset:         28
        .size:           4
        .value_kind:     hidden_block_count_y
      - .offset:         32
        .size:           4
        .value_kind:     hidden_block_count_z
      - .offset:         36
        .size:           2
        .value_kind:     hidden_group_size_x
      - .offset:         38
        .size:           2
        .value_kind:     hidden_group_size_y
      - .offset:         40
        .size:           2
        .value_kind:     hidden_group_size_z
      - .offset:         42
        .size:           2
        .value_kind:     hidden_remainder_x
      - .offset:         44
        .size:           2
        .value_kind:     hidden_remainder_y
      - .offset:         46
        .size:           2
        .value_kind:     hidden_remainder_z
      - .offset:         64
        .size:           8
        .value_kind:     hidden_global_offset_x
      - .offset:         72
        .size:           8
        .value_kind:     hidden_global_offset_y
      - .offset:         80
        .size:           8
        .value_kind:     hidden_global_offset_z
      - .offset:         88
        .size:           2
        .value_kind:     hidden_grid_dims
    .group_segment_fixed_size: 256
    .kernarg_segment_align: 8
    .kernarg_segment_size: 280
    .language:       OpenCL C
    .language_version:
      - 2
      - 0
    .max_flat_workgroup_size: 1024
    .name:           _Z4scanIsLi128EEvlPT_PKS0_
    .private_segment_fixed_size: 0
    .sgpr_count:     34
    .sgpr_spill_count: 0
    .symbol:         _Z4scanIsLi128EEvlPT_PKS0_.kd
    .uniform_work_group_size: 1
    .uses_dynamic_stack: false
    .vgpr_count:     18
    .vgpr_spill_count: 0
    .wavefront_size: 64
  - .args:
      - .offset:         0
        .size:           8
        .value_kind:     by_value
      - .actual_access:  write_only
        .address_space:  global
        .offset:         8
        .size:           8
        .value_kind:     global_buffer
      - .actual_access:  read_only
        .address_space:  global
        .offset:         16
        .size:           8
        .value_kind:     global_buffer
      - .offset:         24
        .size:           4
        .value_kind:     hidden_block_count_x
      - .offset:         28
        .size:           4
        .value_kind:     hidden_block_count_y
      - .offset:         32
        .size:           4
        .value_kind:     hidden_block_count_z
      - .offset:         36
        .size:           2
        .value_kind:     hidden_group_size_x
      - .offset:         38
        .size:           2
        .value_kind:     hidden_group_size_y
      - .offset:         40
        .size:           2
        .value_kind:     hidden_group_size_z
      - .offset:         42
        .size:           2
        .value_kind:     hidden_remainder_x
      - .offset:         44
        .size:           2
        .value_kind:     hidden_remainder_y
      - .offset:         46
        .size:           2
        .value_kind:     hidden_remainder_z
      - .offset:         64
        .size:           8
        .value_kind:     hidden_global_offset_x
      - .offset:         72
        .size:           8
        .value_kind:     hidden_global_offset_y
      - .offset:         80
        .size:           8
        .value_kind:     hidden_global_offset_z
      - .offset:         88
        .size:           2
        .value_kind:     hidden_grid_dims
    .group_segment_fixed_size: 512
    .kernarg_segment_align: 8
    .kernarg_segment_size: 280
    .language:       OpenCL C
    .language_version:
      - 2
      - 0
    .max_flat_workgroup_size: 1024
    .name:           _Z9scan_bcaoIsLi128EEvlPT_PKS0_
    .private_segment_fixed_size: 0
    .sgpr_count:     31
    .sgpr_spill_count: 0
    .symbol:         _Z9scan_bcaoIsLi128EEvlPT_PKS0_.kd
    .uniform_work_group_size: 1
    .uses_dynamic_stack: false
    .vgpr_count:     21
    .vgpr_spill_count: 0
    .wavefront_size: 64
  - .args:
      - .offset:         0
        .size:           8
        .value_kind:     by_value
      - .actual_access:  write_only
        .address_space:  global
        .offset:         8
        .size:           8
        .value_kind:     global_buffer
      - .actual_access:  read_only
        .address_space:  global
        .offset:         16
        .size:           8
        .value_kind:     global_buffer
      - .offset:         24
        .size:           4
        .value_kind:     hidden_block_count_x
      - .offset:         28
        .size:           4
        .value_kind:     hidden_block_count_y
      - .offset:         32
        .size:           4
        .value_kind:     hidden_block_count_z
      - .offset:         36
        .size:           2
        .value_kind:     hidden_group_size_x
      - .offset:         38
        .size:           2
        .value_kind:     hidden_group_size_y
      - .offset:         40
        .size:           2
        .value_kind:     hidden_group_size_z
      - .offset:         42
        .size:           2
        .value_kind:     hidden_remainder_x
      - .offset:         44
        .size:           2
        .value_kind:     hidden_remainder_y
      - .offset:         46
        .size:           2
        .value_kind:     hidden_remainder_z
      - .offset:         64
        .size:           8
        .value_kind:     hidden_global_offset_x
      - .offset:         72
        .size:           8
        .value_kind:     hidden_global_offset_y
      - .offset:         80
        .size:           8
        .value_kind:     hidden_global_offset_z
      - .offset:         88
        .size:           2
        .value_kind:     hidden_grid_dims
    .group_segment_fixed_size: 512
    .kernarg_segment_align: 8
    .kernarg_segment_size: 280
    .language:       OpenCL C
    .language_version:
      - 2
      - 0
    .max_flat_workgroup_size: 1024
    .name:           _Z4scanIiLi128EEvlPT_PKS0_
    .private_segment_fixed_size: 0
    .sgpr_count:     34
    .sgpr_spill_count: 0
    .symbol:         _Z4scanIiLi128EEvlPT_PKS0_.kd
    .uniform_work_group_size: 1
    .uses_dynamic_stack: false
    .vgpr_count:     19
    .vgpr_spill_count: 0
    .wavefront_size: 64
  - .args:
      - .offset:         0
        .size:           8
        .value_kind:     by_value
      - .actual_access:  write_only
        .address_space:  global
        .offset:         8
        .size:           8
        .value_kind:     global_buffer
      - .actual_access:  read_only
        .address_space:  global
        .offset:         16
        .size:           8
        .value_kind:     global_buffer
      - .offset:         24
        .size:           4
        .value_kind:     hidden_block_count_x
      - .offset:         28
        .size:           4
        .value_kind:     hidden_block_count_y
      - .offset:         32
        .size:           4
        .value_kind:     hidden_block_count_z
      - .offset:         36
        .size:           2
        .value_kind:     hidden_group_size_x
      - .offset:         38
        .size:           2
        .value_kind:     hidden_group_size_y
      - .offset:         40
        .size:           2
        .value_kind:     hidden_group_size_z
      - .offset:         42
        .size:           2
        .value_kind:     hidden_remainder_x
      - .offset:         44
        .size:           2
        .value_kind:     hidden_remainder_y
      - .offset:         46
        .size:           2
        .value_kind:     hidden_remainder_z
      - .offset:         64
        .size:           8
        .value_kind:     hidden_global_offset_x
      - .offset:         72
        .size:           8
        .value_kind:     hidden_global_offset_y
      - .offset:         80
        .size:           8
        .value_kind:     hidden_global_offset_z
      - .offset:         88
        .size:           2
        .value_kind:     hidden_grid_dims
    .group_segment_fixed_size: 1024
    .kernarg_segment_align: 8
    .kernarg_segment_size: 280
    .language:       OpenCL C
    .language_version:
      - 2
      - 0
    .max_flat_workgroup_size: 1024
    .name:           _Z9scan_bcaoIiLi128EEvlPT_PKS0_
    .private_segment_fixed_size: 0
    .sgpr_count:     31
    .sgpr_spill_count: 0
    .symbol:         _Z9scan_bcaoIiLi128EEvlPT_PKS0_.kd
    .uniform_work_group_size: 1
    .uses_dynamic_stack: false
    .vgpr_count:     21
    .vgpr_spill_count: 0
    .wavefront_size: 64
  - .args:
      - .offset:         0
        .size:           8
        .value_kind:     by_value
      - .actual_access:  write_only
        .address_space:  global
        .offset:         8
        .size:           8
        .value_kind:     global_buffer
      - .actual_access:  read_only
        .address_space:  global
        .offset:         16
        .size:           8
        .value_kind:     global_buffer
      - .offset:         24
        .size:           4
        .value_kind:     hidden_block_count_x
      - .offset:         28
        .size:           4
        .value_kind:     hidden_block_count_y
      - .offset:         32
        .size:           4
        .value_kind:     hidden_block_count_z
      - .offset:         36
        .size:           2
        .value_kind:     hidden_group_size_x
      - .offset:         38
        .size:           2
        .value_kind:     hidden_group_size_y
      - .offset:         40
        .size:           2
        .value_kind:     hidden_group_size_z
      - .offset:         42
        .size:           2
        .value_kind:     hidden_remainder_x
      - .offset:         44
        .size:           2
        .value_kind:     hidden_remainder_y
      - .offset:         46
        .size:           2
        .value_kind:     hidden_remainder_z
      - .offset:         64
        .size:           8
        .value_kind:     hidden_global_offset_x
      - .offset:         72
        .size:           8
        .value_kind:     hidden_global_offset_y
      - .offset:         80
        .size:           8
        .value_kind:     hidden_global_offset_z
      - .offset:         88
        .size:           2
        .value_kind:     hidden_grid_dims
    .group_segment_fixed_size: 1024
    .kernarg_segment_align: 8
    .kernarg_segment_size: 280
    .language:       OpenCL C
    .language_version:
      - 2
      - 0
    .max_flat_workgroup_size: 1024
    .name:           _Z4scanIlLi128EEvlPT_PKS0_
    .private_segment_fixed_size: 0
    .sgpr_count:     34
    .sgpr_spill_count: 0
    .symbol:         _Z4scanIlLi128EEvlPT_PKS0_.kd
    .uniform_work_group_size: 1
    .uses_dynamic_stack: false
    .vgpr_count:     24
    .vgpr_spill_count: 0
    .wavefront_size: 64
  - .args:
      - .offset:         0
        .size:           8
        .value_kind:     by_value
      - .actual_access:  write_only
        .address_space:  global
        .offset:         8
        .size:           8
        .value_kind:     global_buffer
      - .actual_access:  read_only
        .address_space:  global
        .offset:         16
        .size:           8
        .value_kind:     global_buffer
      - .offset:         24
        .size:           4
        .value_kind:     hidden_block_count_x
      - .offset:         28
        .size:           4
        .value_kind:     hidden_block_count_y
      - .offset:         32
        .size:           4
        .value_kind:     hidden_block_count_z
      - .offset:         36
        .size:           2
        .value_kind:     hidden_group_size_x
      - .offset:         38
        .size:           2
        .value_kind:     hidden_group_size_y
      - .offset:         40
        .size:           2
        .value_kind:     hidden_group_size_z
      - .offset:         42
        .size:           2
        .value_kind:     hidden_remainder_x
      - .offset:         44
        .size:           2
        .value_kind:     hidden_remainder_y
      - .offset:         46
        .size:           2
        .value_kind:     hidden_remainder_z
      - .offset:         64
        .size:           8
        .value_kind:     hidden_global_offset_x
      - .offset:         72
        .size:           8
        .value_kind:     hidden_global_offset_y
      - .offset:         80
        .size:           8
        .value_kind:     hidden_global_offset_z
      - .offset:         88
        .size:           2
        .value_kind:     hidden_grid_dims
    .group_segment_fixed_size: 2048
    .kernarg_segment_align: 8
    .kernarg_segment_size: 280
    .language:       OpenCL C
    .language_version:
      - 2
      - 0
    .max_flat_workgroup_size: 1024
    .name:           _Z9scan_bcaoIlLi128EEvlPT_PKS0_
    .private_segment_fixed_size: 0
    .sgpr_count:     31
    .sgpr_spill_count: 0
    .symbol:         _Z9scan_bcaoIlLi128EEvlPT_PKS0_.kd
    .uniform_work_group_size: 1
    .uses_dynamic_stack: false
    .vgpr_count:     24
    .vgpr_spill_count: 0
    .wavefront_size: 64
  - .args:
      - .offset:         0
        .size:           8
        .value_kind:     by_value
      - .actual_access:  write_only
        .address_space:  global
        .offset:         8
        .size:           8
        .value_kind:     global_buffer
      - .actual_access:  read_only
        .address_space:  global
        .offset:         16
        .size:           8
        .value_kind:     global_buffer
      - .offset:         24
        .size:           4
        .value_kind:     hidden_block_count_x
      - .offset:         28
        .size:           4
        .value_kind:     hidden_block_count_y
      - .offset:         32
        .size:           4
        .value_kind:     hidden_block_count_z
      - .offset:         36
        .size:           2
        .value_kind:     hidden_group_size_x
      - .offset:         38
        .size:           2
        .value_kind:     hidden_group_size_y
      - .offset:         40
        .size:           2
        .value_kind:     hidden_group_size_z
      - .offset:         42
        .size:           2
        .value_kind:     hidden_remainder_x
      - .offset:         44
        .size:           2
        .value_kind:     hidden_remainder_y
      - .offset:         46
        .size:           2
        .value_kind:     hidden_remainder_z
      - .offset:         64
        .size:           8
        .value_kind:     hidden_global_offset_x
      - .offset:         72
        .size:           8
        .value_kind:     hidden_global_offset_y
      - .offset:         80
        .size:           8
        .value_kind:     hidden_global_offset_z
      - .offset:         88
        .size:           2
        .value_kind:     hidden_grid_dims
    .group_segment_fixed_size: 256
    .kernarg_segment_align: 8
    .kernarg_segment_size: 280
    .language:       OpenCL C
    .language_version:
      - 2
      - 0
    .max_flat_workgroup_size: 1024
    .name:           _Z4scanIcLi256EEvlPT_PKS0_
    .private_segment_fixed_size: 0
    .sgpr_count:     35
    .sgpr_spill_count: 0
    .symbol:         _Z4scanIcLi256EEvlPT_PKS0_.kd
    .uniform_work_group_size: 1
    .uses_dynamic_stack: false
    .vgpr_count:     21
    .vgpr_spill_count: 0
    .wavefront_size: 64
  - .args:
      - .offset:         0
        .size:           8
        .value_kind:     by_value
      - .actual_access:  write_only
        .address_space:  global
        .offset:         8
        .size:           8
        .value_kind:     global_buffer
      - .actual_access:  read_only
        .address_space:  global
        .offset:         16
        .size:           8
        .value_kind:     global_buffer
      - .offset:         24
        .size:           4
        .value_kind:     hidden_block_count_x
      - .offset:         28
        .size:           4
        .value_kind:     hidden_block_count_y
      - .offset:         32
        .size:           4
        .value_kind:     hidden_block_count_z
      - .offset:         36
        .size:           2
        .value_kind:     hidden_group_size_x
      - .offset:         38
        .size:           2
        .value_kind:     hidden_group_size_y
      - .offset:         40
        .size:           2
        .value_kind:     hidden_group_size_z
      - .offset:         42
        .size:           2
        .value_kind:     hidden_remainder_x
      - .offset:         44
        .size:           2
        .value_kind:     hidden_remainder_y
      - .offset:         46
        .size:           2
        .value_kind:     hidden_remainder_z
      - .offset:         64
        .size:           8
        .value_kind:     hidden_global_offset_x
      - .offset:         72
        .size:           8
        .value_kind:     hidden_global_offset_y
      - .offset:         80
        .size:           8
        .value_kind:     hidden_global_offset_z
      - .offset:         88
        .size:           2
        .value_kind:     hidden_grid_dims
    .group_segment_fixed_size: 512
    .kernarg_segment_align: 8
    .kernarg_segment_size: 280
    .language:       OpenCL C
    .language_version:
      - 2
      - 0
    .max_flat_workgroup_size: 1024
    .name:           _Z9scan_bcaoIcLi256EEvlPT_PKS0_
    .private_segment_fixed_size: 0
    .sgpr_count:     34
    .sgpr_spill_count: 0
    .symbol:         _Z9scan_bcaoIcLi256EEvlPT_PKS0_.kd
    .uniform_work_group_size: 1
    .uses_dynamic_stack: false
    .vgpr_count:     24
    .vgpr_spill_count: 0
    .wavefront_size: 64
  - .args:
      - .offset:         0
        .size:           8
        .value_kind:     by_value
      - .actual_access:  write_only
        .address_space:  global
        .offset:         8
        .size:           8
        .value_kind:     global_buffer
      - .actual_access:  read_only
        .address_space:  global
        .offset:         16
        .size:           8
        .value_kind:     global_buffer
      - .offset:         24
        .size:           4
        .value_kind:     hidden_block_count_x
      - .offset:         28
        .size:           4
        .value_kind:     hidden_block_count_y
      - .offset:         32
        .size:           4
        .value_kind:     hidden_block_count_z
      - .offset:         36
        .size:           2
        .value_kind:     hidden_group_size_x
      - .offset:         38
        .size:           2
        .value_kind:     hidden_group_size_y
      - .offset:         40
        .size:           2
        .value_kind:     hidden_group_size_z
      - .offset:         42
        .size:           2
        .value_kind:     hidden_remainder_x
      - .offset:         44
        .size:           2
        .value_kind:     hidden_remainder_y
      - .offset:         46
        .size:           2
        .value_kind:     hidden_remainder_z
      - .offset:         64
        .size:           8
        .value_kind:     hidden_global_offset_x
      - .offset:         72
        .size:           8
        .value_kind:     hidden_global_offset_y
      - .offset:         80
        .size:           8
        .value_kind:     hidden_global_offset_z
      - .offset:         88
        .size:           2
        .value_kind:     hidden_grid_dims
    .group_segment_fixed_size: 512
    .kernarg_segment_align: 8
    .kernarg_segment_size: 280
    .language:       OpenCL C
    .language_version:
      - 2
      - 0
    .max_flat_workgroup_size: 1024
    .name:           _Z4scanIsLi256EEvlPT_PKS0_
    .private_segment_fixed_size: 0
    .sgpr_count:     36
    .sgpr_spill_count: 0
    .symbol:         _Z4scanIsLi256EEvlPT_PKS0_.kd
    .uniform_work_group_size: 1
    .uses_dynamic_stack: false
    .vgpr_count:     20
    .vgpr_spill_count: 0
    .wavefront_size: 64
  - .args:
      - .offset:         0
        .size:           8
        .value_kind:     by_value
      - .actual_access:  write_only
        .address_space:  global
        .offset:         8
        .size:           8
        .value_kind:     global_buffer
      - .actual_access:  read_only
        .address_space:  global
        .offset:         16
        .size:           8
        .value_kind:     global_buffer
      - .offset:         24
        .size:           4
        .value_kind:     hidden_block_count_x
      - .offset:         28
        .size:           4
        .value_kind:     hidden_block_count_y
      - .offset:         32
        .size:           4
        .value_kind:     hidden_block_count_z
      - .offset:         36
        .size:           2
        .value_kind:     hidden_group_size_x
      - .offset:         38
        .size:           2
        .value_kind:     hidden_group_size_y
      - .offset:         40
        .size:           2
        .value_kind:     hidden_group_size_z
      - .offset:         42
        .size:           2
        .value_kind:     hidden_remainder_x
      - .offset:         44
        .size:           2
        .value_kind:     hidden_remainder_y
      - .offset:         46
        .size:           2
        .value_kind:     hidden_remainder_z
      - .offset:         64
        .size:           8
        .value_kind:     hidden_global_offset_x
      - .offset:         72
        .size:           8
        .value_kind:     hidden_global_offset_y
      - .offset:         80
        .size:           8
        .value_kind:     hidden_global_offset_z
      - .offset:         88
        .size:           2
        .value_kind:     hidden_grid_dims
    .group_segment_fixed_size: 1024
    .kernarg_segment_align: 8
    .kernarg_segment_size: 280
    .language:       OpenCL C
    .language_version:
      - 2
      - 0
    .max_flat_workgroup_size: 1024
    .name:           _Z9scan_bcaoIsLi256EEvlPT_PKS0_
    .private_segment_fixed_size: 0
    .sgpr_count:     34
    .sgpr_spill_count: 0
    .symbol:         _Z9scan_bcaoIsLi256EEvlPT_PKS0_.kd
    .uniform_work_group_size: 1
    .uses_dynamic_stack: false
    .vgpr_count:     23
    .vgpr_spill_count: 0
    .wavefront_size: 64
  - .args:
      - .offset:         0
        .size:           8
        .value_kind:     by_value
      - .actual_access:  write_only
        .address_space:  global
        .offset:         8
        .size:           8
        .value_kind:     global_buffer
      - .actual_access:  read_only
        .address_space:  global
        .offset:         16
        .size:           8
        .value_kind:     global_buffer
      - .offset:         24
        .size:           4
        .value_kind:     hidden_block_count_x
      - .offset:         28
        .size:           4
        .value_kind:     hidden_block_count_y
      - .offset:         32
        .size:           4
        .value_kind:     hidden_block_count_z
      - .offset:         36
        .size:           2
        .value_kind:     hidden_group_size_x
      - .offset:         38
        .size:           2
        .value_kind:     hidden_group_size_y
      - .offset:         40
        .size:           2
        .value_kind:     hidden_group_size_z
      - .offset:         42
        .size:           2
        .value_kind:     hidden_remainder_x
      - .offset:         44
        .size:           2
        .value_kind:     hidden_remainder_y
      - .offset:         46
        .size:           2
        .value_kind:     hidden_remainder_z
      - .offset:         64
        .size:           8
        .value_kind:     hidden_global_offset_x
      - .offset:         72
        .size:           8
        .value_kind:     hidden_global_offset_y
      - .offset:         80
        .size:           8
        .value_kind:     hidden_global_offset_z
      - .offset:         88
        .size:           2
        .value_kind:     hidden_grid_dims
    .group_segment_fixed_size: 1024
    .kernarg_segment_align: 8
    .kernarg_segment_size: 280
    .language:       OpenCL C
    .language_version:
      - 2
      - 0
    .max_flat_workgroup_size: 1024
    .name:           _Z4scanIiLi256EEvlPT_PKS0_
    .private_segment_fixed_size: 0
    .sgpr_count:     35
    .sgpr_spill_count: 0
    .symbol:         _Z4scanIiLi256EEvlPT_PKS0_.kd
    .uniform_work_group_size: 1
    .uses_dynamic_stack: false
    .vgpr_count:     21
    .vgpr_spill_count: 0
    .wavefront_size: 64
  - .args:
      - .offset:         0
        .size:           8
        .value_kind:     by_value
      - .actual_access:  write_only
        .address_space:  global
        .offset:         8
        .size:           8
        .value_kind:     global_buffer
      - .actual_access:  read_only
        .address_space:  global
        .offset:         16
        .size:           8
        .value_kind:     global_buffer
      - .offset:         24
        .size:           4
        .value_kind:     hidden_block_count_x
      - .offset:         28
        .size:           4
        .value_kind:     hidden_block_count_y
      - .offset:         32
        .size:           4
        .value_kind:     hidden_block_count_z
      - .offset:         36
        .size:           2
        .value_kind:     hidden_group_size_x
      - .offset:         38
        .size:           2
        .value_kind:     hidden_group_size_y
      - .offset:         40
        .size:           2
        .value_kind:     hidden_group_size_z
      - .offset:         42
        .size:           2
        .value_kind:     hidden_remainder_x
      - .offset:         44
        .size:           2
        .value_kind:     hidden_remainder_y
      - .offset:         46
        .size:           2
        .value_kind:     hidden_remainder_z
      - .offset:         64
        .size:           8
        .value_kind:     hidden_global_offset_x
      - .offset:         72
        .size:           8
        .value_kind:     hidden_global_offset_y
      - .offset:         80
        .size:           8
        .value_kind:     hidden_global_offset_z
      - .offset:         88
        .size:           2
        .value_kind:     hidden_grid_dims
    .group_segment_fixed_size: 2048
    .kernarg_segment_align: 8
    .kernarg_segment_size: 280
    .language:       OpenCL C
    .language_version:
      - 2
      - 0
    .max_flat_workgroup_size: 1024
    .name:           _Z9scan_bcaoIiLi256EEvlPT_PKS0_
    .private_segment_fixed_size: 0
    .sgpr_count:     34
    .sgpr_spill_count: 0
    .symbol:         _Z9scan_bcaoIiLi256EEvlPT_PKS0_.kd
    .uniform_work_group_size: 1
    .uses_dynamic_stack: false
    .vgpr_count:     23
    .vgpr_spill_count: 0
    .wavefront_size: 64
  - .args:
      - .offset:         0
        .size:           8
        .value_kind:     by_value
      - .actual_access:  write_only
        .address_space:  global
        .offset:         8
        .size:           8
        .value_kind:     global_buffer
      - .actual_access:  read_only
        .address_space:  global
        .offset:         16
        .size:           8
        .value_kind:     global_buffer
      - .offset:         24
        .size:           4
        .value_kind:     hidden_block_count_x
      - .offset:         28
        .size:           4
        .value_kind:     hidden_block_count_y
      - .offset:         32
        .size:           4
        .value_kind:     hidden_block_count_z
      - .offset:         36
        .size:           2
        .value_kind:     hidden_group_size_x
      - .offset:         38
        .size:           2
        .value_kind:     hidden_group_size_y
      - .offset:         40
        .size:           2
        .value_kind:     hidden_group_size_z
      - .offset:         42
        .size:           2
        .value_kind:     hidden_remainder_x
      - .offset:         44
        .size:           2
        .value_kind:     hidden_remainder_y
      - .offset:         46
        .size:           2
        .value_kind:     hidden_remainder_z
      - .offset:         64
        .size:           8
        .value_kind:     hidden_global_offset_x
      - .offset:         72
        .size:           8
        .value_kind:     hidden_global_offset_y
      - .offset:         80
        .size:           8
        .value_kind:     hidden_global_offset_z
      - .offset:         88
        .size:           2
        .value_kind:     hidden_grid_dims
    .group_segment_fixed_size: 2048
    .kernarg_segment_align: 8
    .kernarg_segment_size: 280
    .language:       OpenCL C
    .language_version:
      - 2
      - 0
    .max_flat_workgroup_size: 1024
    .name:           _Z4scanIlLi256EEvlPT_PKS0_
    .private_segment_fixed_size: 0
    .sgpr_count:     35
    .sgpr_spill_count: 0
    .symbol:         _Z4scanIlLi256EEvlPT_PKS0_.kd
    .uniform_work_group_size: 1
    .uses_dynamic_stack: false
    .vgpr_count:     26
    .vgpr_spill_count: 0
    .wavefront_size: 64
  - .args:
      - .offset:         0
        .size:           8
        .value_kind:     by_value
      - .actual_access:  write_only
        .address_space:  global
        .offset:         8
        .size:           8
        .value_kind:     global_buffer
      - .actual_access:  read_only
        .address_space:  global
        .offset:         16
        .size:           8
        .value_kind:     global_buffer
      - .offset:         24
        .size:           4
        .value_kind:     hidden_block_count_x
      - .offset:         28
        .size:           4
        .value_kind:     hidden_block_count_y
      - .offset:         32
        .size:           4
        .value_kind:     hidden_block_count_z
      - .offset:         36
        .size:           2
        .value_kind:     hidden_group_size_x
      - .offset:         38
        .size:           2
        .value_kind:     hidden_group_size_y
      - .offset:         40
        .size:           2
        .value_kind:     hidden_group_size_z
      - .offset:         42
        .size:           2
        .value_kind:     hidden_remainder_x
      - .offset:         44
        .size:           2
        .value_kind:     hidden_remainder_y
      - .offset:         46
        .size:           2
        .value_kind:     hidden_remainder_z
      - .offset:         64
        .size:           8
        .value_kind:     hidden_global_offset_x
      - .offset:         72
        .size:           8
        .value_kind:     hidden_global_offset_y
      - .offset:         80
        .size:           8
        .value_kind:     hidden_global_offset_z
      - .offset:         88
        .size:           2
        .value_kind:     hidden_grid_dims
    .group_segment_fixed_size: 4096
    .kernarg_segment_align: 8
    .kernarg_segment_size: 280
    .language:       OpenCL C
    .language_version:
      - 2
      - 0
    .max_flat_workgroup_size: 1024
    .name:           _Z9scan_bcaoIlLi256EEvlPT_PKS0_
    .private_segment_fixed_size: 0
    .sgpr_count:     34
    .sgpr_spill_count: 0
    .symbol:         _Z9scan_bcaoIlLi256EEvlPT_PKS0_.kd
    .uniform_work_group_size: 1
    .uses_dynamic_stack: false
    .vgpr_count:     27
    .vgpr_spill_count: 0
    .wavefront_size: 64
  - .args:
      - .offset:         0
        .size:           8
        .value_kind:     by_value
      - .actual_access:  write_only
        .address_space:  global
        .offset:         8
        .size:           8
        .value_kind:     global_buffer
      - .actual_access:  read_only
        .address_space:  global
        .offset:         16
        .size:           8
        .value_kind:     global_buffer
      - .offset:         24
        .size:           4
        .value_kind:     hidden_block_count_x
      - .offset:         28
        .size:           4
        .value_kind:     hidden_block_count_y
      - .offset:         32
        .size:           4
        .value_kind:     hidden_block_count_z
      - .offset:         36
        .size:           2
        .value_kind:     hidden_group_size_x
      - .offset:         38
        .size:           2
        .value_kind:     hidden_group_size_y
      - .offset:         40
        .size:           2
        .value_kind:     hidden_group_size_z
      - .offset:         42
        .size:           2
        .value_kind:     hidden_remainder_x
      - .offset:         44
        .size:           2
        .value_kind:     hidden_remainder_y
      - .offset:         46
        .size:           2
        .value_kind:     hidden_remainder_z
      - .offset:         64
        .size:           8
        .value_kind:     hidden_global_offset_x
      - .offset:         72
        .size:           8
        .value_kind:     hidden_global_offset_y
      - .offset:         80
        .size:           8
        .value_kind:     hidden_global_offset_z
      - .offset:         88
        .size:           2
        .value_kind:     hidden_grid_dims
    .group_segment_fixed_size: 512
    .kernarg_segment_align: 8
    .kernarg_segment_size: 280
    .language:       OpenCL C
    .language_version:
      - 2
      - 0
    .max_flat_workgroup_size: 1024
    .name:           _Z4scanIcLi512EEvlPT_PKS0_
    .private_segment_fixed_size: 0
    .sgpr_count:     40
    .sgpr_spill_count: 0
    .symbol:         _Z4scanIcLi512EEvlPT_PKS0_.kd
    .uniform_work_group_size: 1
    .uses_dynamic_stack: false
    .vgpr_count:     23
    .vgpr_spill_count: 0
    .wavefront_size: 64
  - .args:
      - .offset:         0
        .size:           8
        .value_kind:     by_value
      - .actual_access:  write_only
        .address_space:  global
        .offset:         8
        .size:           8
        .value_kind:     global_buffer
      - .actual_access:  read_only
        .address_space:  global
        .offset:         16
        .size:           8
        .value_kind:     global_buffer
      - .offset:         24
        .size:           4
        .value_kind:     hidden_block_count_x
      - .offset:         28
        .size:           4
        .value_kind:     hidden_block_count_y
      - .offset:         32
        .size:           4
        .value_kind:     hidden_block_count_z
      - .offset:         36
        .size:           2
        .value_kind:     hidden_group_size_x
      - .offset:         38
        .size:           2
        .value_kind:     hidden_group_size_y
      - .offset:         40
        .size:           2
        .value_kind:     hidden_group_size_z
      - .offset:         42
        .size:           2
        .value_kind:     hidden_remainder_x
      - .offset:         44
        .size:           2
        .value_kind:     hidden_remainder_y
      - .offset:         46
        .size:           2
        .value_kind:     hidden_remainder_z
      - .offset:         64
        .size:           8
        .value_kind:     hidden_global_offset_x
      - .offset:         72
        .size:           8
        .value_kind:     hidden_global_offset_y
      - .offset:         80
        .size:           8
        .value_kind:     hidden_global_offset_z
      - .offset:         88
        .size:           2
        .value_kind:     hidden_grid_dims
    .group_segment_fixed_size: 1024
    .kernarg_segment_align: 8
    .kernarg_segment_size: 280
    .language:       OpenCL C
    .language_version:
      - 2
      - 0
    .max_flat_workgroup_size: 1024
    .name:           _Z9scan_bcaoIcLi512EEvlPT_PKS0_
    .private_segment_fixed_size: 0
    .sgpr_count:     35
    .sgpr_spill_count: 0
    .symbol:         _Z9scan_bcaoIcLi512EEvlPT_PKS0_.kd
    .uniform_work_group_size: 1
    .uses_dynamic_stack: false
    .vgpr_count:     26
    .vgpr_spill_count: 0
    .wavefront_size: 64
  - .args:
      - .offset:         0
        .size:           8
        .value_kind:     by_value
      - .actual_access:  write_only
        .address_space:  global
        .offset:         8
        .size:           8
        .value_kind:     global_buffer
      - .actual_access:  read_only
        .address_space:  global
        .offset:         16
        .size:           8
        .value_kind:     global_buffer
      - .offset:         24
        .size:           4
        .value_kind:     hidden_block_count_x
      - .offset:         28
        .size:           4
        .value_kind:     hidden_block_count_y
      - .offset:         32
        .size:           4
        .value_kind:     hidden_block_count_z
      - .offset:         36
        .size:           2
        .value_kind:     hidden_group_size_x
      - .offset:         38
        .size:           2
        .value_kind:     hidden_group_size_y
      - .offset:         40
        .size:           2
        .value_kind:     hidden_group_size_z
      - .offset:         42
        .size:           2
        .value_kind:     hidden_remainder_x
      - .offset:         44
        .size:           2
        .value_kind:     hidden_remainder_y
      - .offset:         46
        .size:           2
        .value_kind:     hidden_remainder_z
      - .offset:         64
        .size:           8
        .value_kind:     hidden_global_offset_x
      - .offset:         72
        .size:           8
        .value_kind:     hidden_global_offset_y
      - .offset:         80
        .size:           8
        .value_kind:     hidden_global_offset_z
      - .offset:         88
        .size:           2
        .value_kind:     hidden_grid_dims
    .group_segment_fixed_size: 1024
    .kernarg_segment_align: 8
    .kernarg_segment_size: 280
    .language:       OpenCL C
    .language_version:
      - 2
      - 0
    .max_flat_workgroup_size: 1024
    .name:           _Z4scanIsLi512EEvlPT_PKS0_
    .private_segment_fixed_size: 0
    .sgpr_count:     40
    .sgpr_spill_count: 0
    .symbol:         _Z4scanIsLi512EEvlPT_PKS0_.kd
    .uniform_work_group_size: 1
    .uses_dynamic_stack: false
    .vgpr_count:     22
    .vgpr_spill_count: 0
    .wavefront_size: 64
  - .args:
      - .offset:         0
        .size:           8
        .value_kind:     by_value
      - .actual_access:  write_only
        .address_space:  global
        .offset:         8
        .size:           8
        .value_kind:     global_buffer
      - .actual_access:  read_only
        .address_space:  global
        .offset:         16
        .size:           8
        .value_kind:     global_buffer
      - .offset:         24
        .size:           4
        .value_kind:     hidden_block_count_x
      - .offset:         28
        .size:           4
        .value_kind:     hidden_block_count_y
      - .offset:         32
        .size:           4
        .value_kind:     hidden_block_count_z
      - .offset:         36
        .size:           2
        .value_kind:     hidden_group_size_x
      - .offset:         38
        .size:           2
        .value_kind:     hidden_group_size_y
      - .offset:         40
        .size:           2
        .value_kind:     hidden_group_size_z
      - .offset:         42
        .size:           2
        .value_kind:     hidden_remainder_x
      - .offset:         44
        .size:           2
        .value_kind:     hidden_remainder_y
      - .offset:         46
        .size:           2
        .value_kind:     hidden_remainder_z
      - .offset:         64
        .size:           8
        .value_kind:     hidden_global_offset_x
      - .offset:         72
        .size:           8
        .value_kind:     hidden_global_offset_y
      - .offset:         80
        .size:           8
        .value_kind:     hidden_global_offset_z
      - .offset:         88
        .size:           2
        .value_kind:     hidden_grid_dims
    .group_segment_fixed_size: 2048
    .kernarg_segment_align: 8
    .kernarg_segment_size: 280
    .language:       OpenCL C
    .language_version:
      - 2
      - 0
    .max_flat_workgroup_size: 1024
    .name:           _Z9scan_bcaoIsLi512EEvlPT_PKS0_
    .private_segment_fixed_size: 0
    .sgpr_count:     35
    .sgpr_spill_count: 0
    .symbol:         _Z9scan_bcaoIsLi512EEvlPT_PKS0_.kd
    .uniform_work_group_size: 1
    .uses_dynamic_stack: false
    .vgpr_count:     25
    .vgpr_spill_count: 0
    .wavefront_size: 64
  - .args:
      - .offset:         0
        .size:           8
        .value_kind:     by_value
      - .actual_access:  write_only
        .address_space:  global
        .offset:         8
        .size:           8
        .value_kind:     global_buffer
      - .actual_access:  read_only
        .address_space:  global
        .offset:         16
        .size:           8
        .value_kind:     global_buffer
      - .offset:         24
        .size:           4
        .value_kind:     hidden_block_count_x
      - .offset:         28
        .size:           4
        .value_kind:     hidden_block_count_y
      - .offset:         32
        .size:           4
        .value_kind:     hidden_block_count_z
      - .offset:         36
        .size:           2
        .value_kind:     hidden_group_size_x
      - .offset:         38
        .size:           2
        .value_kind:     hidden_group_size_y
      - .offset:         40
        .size:           2
        .value_kind:     hidden_group_size_z
      - .offset:         42
        .size:           2
        .value_kind:     hidden_remainder_x
      - .offset:         44
        .size:           2
        .value_kind:     hidden_remainder_y
      - .offset:         46
        .size:           2
        .value_kind:     hidden_remainder_z
      - .offset:         64
        .size:           8
        .value_kind:     hidden_global_offset_x
      - .offset:         72
        .size:           8
        .value_kind:     hidden_global_offset_y
      - .offset:         80
        .size:           8
        .value_kind:     hidden_global_offset_z
      - .offset:         88
        .size:           2
        .value_kind:     hidden_grid_dims
    .group_segment_fixed_size: 2048
    .kernarg_segment_align: 8
    .kernarg_segment_size: 280
    .language:       OpenCL C
    .language_version:
      - 2
      - 0
    .max_flat_workgroup_size: 1024
    .name:           _Z4scanIiLi512EEvlPT_PKS0_
    .private_segment_fixed_size: 0
    .sgpr_count:     40
    .sgpr_spill_count: 0
    .symbol:         _Z4scanIiLi512EEvlPT_PKS0_.kd
    .uniform_work_group_size: 1
    .uses_dynamic_stack: false
    .vgpr_count:     24
    .vgpr_spill_count: 0
    .wavefront_size: 64
  - .args:
      - .offset:         0
        .size:           8
        .value_kind:     by_value
      - .actual_access:  write_only
        .address_space:  global
        .offset:         8
        .size:           8
        .value_kind:     global_buffer
      - .actual_access:  read_only
        .address_space:  global
        .offset:         16
        .size:           8
        .value_kind:     global_buffer
      - .offset:         24
        .size:           4
        .value_kind:     hidden_block_count_x
      - .offset:         28
        .size:           4
        .value_kind:     hidden_block_count_y
      - .offset:         32
        .size:           4
        .value_kind:     hidden_block_count_z
      - .offset:         36
        .size:           2
        .value_kind:     hidden_group_size_x
      - .offset:         38
        .size:           2
        .value_kind:     hidden_group_size_y
      - .offset:         40
        .size:           2
        .value_kind:     hidden_group_size_z
      - .offset:         42
        .size:           2
        .value_kind:     hidden_remainder_x
      - .offset:         44
        .size:           2
        .value_kind:     hidden_remainder_y
      - .offset:         46
        .size:           2
        .value_kind:     hidden_remainder_z
      - .offset:         64
        .size:           8
        .value_kind:     hidden_global_offset_x
      - .offset:         72
        .size:           8
        .value_kind:     hidden_global_offset_y
      - .offset:         80
        .size:           8
        .value_kind:     hidden_global_offset_z
      - .offset:         88
        .size:           2
        .value_kind:     hidden_grid_dims
    .group_segment_fixed_size: 4096
    .kernarg_segment_align: 8
    .kernarg_segment_size: 280
    .language:       OpenCL C
    .language_version:
      - 2
      - 0
    .max_flat_workgroup_size: 1024
    .name:           _Z9scan_bcaoIiLi512EEvlPT_PKS0_
    .private_segment_fixed_size: 0
    .sgpr_count:     35
    .sgpr_spill_count: 0
    .symbol:         _Z9scan_bcaoIiLi512EEvlPT_PKS0_.kd
    .uniform_work_group_size: 1
    .uses_dynamic_stack: false
    .vgpr_count:     26
    .vgpr_spill_count: 0
    .wavefront_size: 64
  - .args:
      - .offset:         0
        .size:           8
        .value_kind:     by_value
      - .actual_access:  write_only
        .address_space:  global
        .offset:         8
        .size:           8
        .value_kind:     global_buffer
      - .actual_access:  read_only
        .address_space:  global
        .offset:         16
        .size:           8
        .value_kind:     global_buffer
      - .offset:         24
        .size:           4
        .value_kind:     hidden_block_count_x
      - .offset:         28
        .size:           4
        .value_kind:     hidden_block_count_y
      - .offset:         32
        .size:           4
        .value_kind:     hidden_block_count_z
      - .offset:         36
        .size:           2
        .value_kind:     hidden_group_size_x
      - .offset:         38
        .size:           2
        .value_kind:     hidden_group_size_y
      - .offset:         40
        .size:           2
        .value_kind:     hidden_group_size_z
      - .offset:         42
        .size:           2
        .value_kind:     hidden_remainder_x
      - .offset:         44
        .size:           2
        .value_kind:     hidden_remainder_y
      - .offset:         46
        .size:           2
        .value_kind:     hidden_remainder_z
      - .offset:         64
        .size:           8
        .value_kind:     hidden_global_offset_x
      - .offset:         72
        .size:           8
        .value_kind:     hidden_global_offset_y
      - .offset:         80
        .size:           8
        .value_kind:     hidden_global_offset_z
      - .offset:         88
        .size:           2
        .value_kind:     hidden_grid_dims
    .group_segment_fixed_size: 4096
    .kernarg_segment_align: 8
    .kernarg_segment_size: 280
    .language:       OpenCL C
    .language_version:
      - 2
      - 0
    .max_flat_workgroup_size: 1024
    .name:           _Z4scanIlLi512EEvlPT_PKS0_
    .private_segment_fixed_size: 0
    .sgpr_count:     40
    .sgpr_spill_count: 0
    .symbol:         _Z4scanIlLi512EEvlPT_PKS0_.kd
    .uniform_work_group_size: 1
    .uses_dynamic_stack: false
    .vgpr_count:     28
    .vgpr_spill_count: 0
    .wavefront_size: 64
  - .args:
      - .offset:         0
        .size:           8
        .value_kind:     by_value
      - .actual_access:  write_only
        .address_space:  global
        .offset:         8
        .size:           8
        .value_kind:     global_buffer
      - .actual_access:  read_only
        .address_space:  global
        .offset:         16
        .size:           8
        .value_kind:     global_buffer
      - .offset:         24
        .size:           4
        .value_kind:     hidden_block_count_x
      - .offset:         28
        .size:           4
        .value_kind:     hidden_block_count_y
      - .offset:         32
        .size:           4
        .value_kind:     hidden_block_count_z
      - .offset:         36
        .size:           2
        .value_kind:     hidden_group_size_x
      - .offset:         38
        .size:           2
        .value_kind:     hidden_group_size_y
      - .offset:         40
        .size:           2
        .value_kind:     hidden_group_size_z
      - .offset:         42
        .size:           2
        .value_kind:     hidden_remainder_x
      - .offset:         44
        .size:           2
        .value_kind:     hidden_remainder_y
      - .offset:         46
        .size:           2
        .value_kind:     hidden_remainder_z
      - .offset:         64
        .size:           8
        .value_kind:     hidden_global_offset_x
      - .offset:         72
        .size:           8
        .value_kind:     hidden_global_offset_y
      - .offset:         80
        .size:           8
        .value_kind:     hidden_global_offset_z
      - .offset:         88
        .size:           2
        .value_kind:     hidden_grid_dims
    .group_segment_fixed_size: 8192
    .kernarg_segment_align: 8
    .kernarg_segment_size: 280
    .language:       OpenCL C
    .language_version:
      - 2
      - 0
    .max_flat_workgroup_size: 1024
    .name:           _Z9scan_bcaoIlLi512EEvlPT_PKS0_
    .private_segment_fixed_size: 0
    .sgpr_count:     35
    .sgpr_spill_count: 0
    .symbol:         _Z9scan_bcaoIlLi512EEvlPT_PKS0_.kd
    .uniform_work_group_size: 1
    .uses_dynamic_stack: false
    .vgpr_count:     29
    .vgpr_spill_count: 0
    .wavefront_size: 64
  - .args:
      - .offset:         0
        .size:           8
        .value_kind:     by_value
      - .actual_access:  write_only
        .address_space:  global
        .offset:         8
        .size:           8
        .value_kind:     global_buffer
      - .actual_access:  read_only
        .address_space:  global
        .offset:         16
        .size:           8
        .value_kind:     global_buffer
      - .offset:         24
        .size:           4
        .value_kind:     hidden_block_count_x
      - .offset:         28
        .size:           4
        .value_kind:     hidden_block_count_y
      - .offset:         32
        .size:           4
        .value_kind:     hidden_block_count_z
      - .offset:         36
        .size:           2
        .value_kind:     hidden_group_size_x
      - .offset:         38
        .size:           2
        .value_kind:     hidden_group_size_y
      - .offset:         40
        .size:           2
        .value_kind:     hidden_group_size_z
      - .offset:         42
        .size:           2
        .value_kind:     hidden_remainder_x
      - .offset:         44
        .size:           2
        .value_kind:     hidden_remainder_y
      - .offset:         46
        .size:           2
        .value_kind:     hidden_remainder_z
      - .offset:         64
        .size:           8
        .value_kind:     hidden_global_offset_x
      - .offset:         72
        .size:           8
        .value_kind:     hidden_global_offset_y
      - .offset:         80
        .size:           8
        .value_kind:     hidden_global_offset_z
      - .offset:         88
        .size:           2
        .value_kind:     hidden_grid_dims
    .group_segment_fixed_size: 1024
    .kernarg_segment_align: 8
    .kernarg_segment_size: 280
    .language:       OpenCL C
    .language_version:
      - 2
      - 0
    .max_flat_workgroup_size: 1024
    .name:           _Z4scanIcLi1024EEvlPT_PKS0_
    .private_segment_fixed_size: 0
    .sgpr_count:     40
    .sgpr_spill_count: 0
    .symbol:         _Z4scanIcLi1024EEvlPT_PKS0_.kd
    .uniform_work_group_size: 1
    .uses_dynamic_stack: false
    .vgpr_count:     25
    .vgpr_spill_count: 0
    .wavefront_size: 64
  - .args:
      - .offset:         0
        .size:           8
        .value_kind:     by_value
      - .actual_access:  write_only
        .address_space:  global
        .offset:         8
        .size:           8
        .value_kind:     global_buffer
      - .actual_access:  read_only
        .address_space:  global
        .offset:         16
        .size:           8
        .value_kind:     global_buffer
      - .offset:         24
        .size:           4
        .value_kind:     hidden_block_count_x
      - .offset:         28
        .size:           4
        .value_kind:     hidden_block_count_y
      - .offset:         32
        .size:           4
        .value_kind:     hidden_block_count_z
      - .offset:         36
        .size:           2
        .value_kind:     hidden_group_size_x
      - .offset:         38
        .size:           2
        .value_kind:     hidden_group_size_y
      - .offset:         40
        .size:           2
        .value_kind:     hidden_group_size_z
      - .offset:         42
        .size:           2
        .value_kind:     hidden_remainder_x
      - .offset:         44
        .size:           2
        .value_kind:     hidden_remainder_y
      - .offset:         46
        .size:           2
        .value_kind:     hidden_remainder_z
      - .offset:         64
        .size:           8
        .value_kind:     hidden_global_offset_x
      - .offset:         72
        .size:           8
        .value_kind:     hidden_global_offset_y
      - .offset:         80
        .size:           8
        .value_kind:     hidden_global_offset_z
      - .offset:         88
        .size:           2
        .value_kind:     hidden_grid_dims
    .group_segment_fixed_size: 2048
    .kernarg_segment_align: 8
    .kernarg_segment_size: 280
    .language:       OpenCL C
    .language_version:
      - 2
      - 0
    .max_flat_workgroup_size: 1024
    .name:           _Z9scan_bcaoIcLi1024EEvlPT_PKS0_
    .private_segment_fixed_size: 0
    .sgpr_count:     40
    .sgpr_spill_count: 0
    .symbol:         _Z9scan_bcaoIcLi1024EEvlPT_PKS0_.kd
    .uniform_work_group_size: 1
    .uses_dynamic_stack: false
    .vgpr_count:     35
    .vgpr_spill_count: 0
    .wavefront_size: 64
  - .args:
      - .offset:         0
        .size:           8
        .value_kind:     by_value
      - .actual_access:  write_only
        .address_space:  global
        .offset:         8
        .size:           8
        .value_kind:     global_buffer
      - .actual_access:  read_only
        .address_space:  global
        .offset:         16
        .size:           8
        .value_kind:     global_buffer
      - .offset:         24
        .size:           4
        .value_kind:     hidden_block_count_x
      - .offset:         28
        .size:           4
        .value_kind:     hidden_block_count_y
      - .offset:         32
        .size:           4
        .value_kind:     hidden_block_count_z
      - .offset:         36
        .size:           2
        .value_kind:     hidden_group_size_x
      - .offset:         38
        .size:           2
        .value_kind:     hidden_group_size_y
      - .offset:         40
        .size:           2
        .value_kind:     hidden_group_size_z
      - .offset:         42
        .size:           2
        .value_kind:     hidden_remainder_x
      - .offset:         44
        .size:           2
        .value_kind:     hidden_remainder_y
      - .offset:         46
        .size:           2
        .value_kind:     hidden_remainder_z
      - .offset:         64
        .size:           8
        .value_kind:     hidden_global_offset_x
      - .offset:         72
        .size:           8
        .value_kind:     hidden_global_offset_y
      - .offset:         80
        .size:           8
        .value_kind:     hidden_global_offset_z
      - .offset:         88
        .size:           2
        .value_kind:     hidden_grid_dims
    .group_segment_fixed_size: 2048
    .kernarg_segment_align: 8
    .kernarg_segment_size: 280
    .language:       OpenCL C
    .language_version:
      - 2
      - 0
    .max_flat_workgroup_size: 1024
    .name:           _Z4scanIsLi1024EEvlPT_PKS0_
    .private_segment_fixed_size: 0
    .sgpr_count:     42
    .sgpr_spill_count: 0
    .symbol:         _Z4scanIsLi1024EEvlPT_PKS0_.kd
    .uniform_work_group_size: 1
    .uses_dynamic_stack: false
    .vgpr_count:     24
    .vgpr_spill_count: 0
    .wavefront_size: 64
  - .args:
      - .offset:         0
        .size:           8
        .value_kind:     by_value
      - .actual_access:  write_only
        .address_space:  global
        .offset:         8
        .size:           8
        .value_kind:     global_buffer
      - .actual_access:  read_only
        .address_space:  global
        .offset:         16
        .size:           8
        .value_kind:     global_buffer
      - .offset:         24
        .size:           4
        .value_kind:     hidden_block_count_x
      - .offset:         28
        .size:           4
        .value_kind:     hidden_block_count_y
      - .offset:         32
        .size:           4
        .value_kind:     hidden_block_count_z
      - .offset:         36
        .size:           2
        .value_kind:     hidden_group_size_x
      - .offset:         38
        .size:           2
        .value_kind:     hidden_group_size_y
      - .offset:         40
        .size:           2
        .value_kind:     hidden_group_size_z
      - .offset:         42
        .size:           2
        .value_kind:     hidden_remainder_x
      - .offset:         44
        .size:           2
        .value_kind:     hidden_remainder_y
      - .offset:         46
        .size:           2
        .value_kind:     hidden_remainder_z
      - .offset:         64
        .size:           8
        .value_kind:     hidden_global_offset_x
      - .offset:         72
        .size:           8
        .value_kind:     hidden_global_offset_y
      - .offset:         80
        .size:           8
        .value_kind:     hidden_global_offset_z
      - .offset:         88
        .size:           2
        .value_kind:     hidden_grid_dims
    .group_segment_fixed_size: 4096
    .kernarg_segment_align: 8
    .kernarg_segment_size: 280
    .language:       OpenCL C
    .language_version:
      - 2
      - 0
    .max_flat_workgroup_size: 1024
    .name:           _Z9scan_bcaoIsLi1024EEvlPT_PKS0_
    .private_segment_fixed_size: 0
    .sgpr_count:     40
    .sgpr_spill_count: 0
    .symbol:         _Z9scan_bcaoIsLi1024EEvlPT_PKS0_.kd
    .uniform_work_group_size: 1
    .uses_dynamic_stack: false
    .vgpr_count:     28
    .vgpr_spill_count: 0
    .wavefront_size: 64
  - .args:
      - .offset:         0
        .size:           8
        .value_kind:     by_value
      - .actual_access:  write_only
        .address_space:  global
        .offset:         8
        .size:           8
        .value_kind:     global_buffer
      - .actual_access:  read_only
        .address_space:  global
        .offset:         16
        .size:           8
        .value_kind:     global_buffer
      - .offset:         24
        .size:           4
        .value_kind:     hidden_block_count_x
      - .offset:         28
        .size:           4
        .value_kind:     hidden_block_count_y
      - .offset:         32
        .size:           4
        .value_kind:     hidden_block_count_z
      - .offset:         36
        .size:           2
        .value_kind:     hidden_group_size_x
      - .offset:         38
        .size:           2
        .value_kind:     hidden_group_size_y
      - .offset:         40
        .size:           2
        .value_kind:     hidden_group_size_z
      - .offset:         42
        .size:           2
        .value_kind:     hidden_remainder_x
      - .offset:         44
        .size:           2
        .value_kind:     hidden_remainder_y
      - .offset:         46
        .size:           2
        .value_kind:     hidden_remainder_z
      - .offset:         64
        .size:           8
        .value_kind:     hidden_global_offset_x
      - .offset:         72
        .size:           8
        .value_kind:     hidden_global_offset_y
      - .offset:         80
        .size:           8
        .value_kind:     hidden_global_offset_z
      - .offset:         88
        .size:           2
        .value_kind:     hidden_grid_dims
    .group_segment_fixed_size: 4096
    .kernarg_segment_align: 8
    .kernarg_segment_size: 280
    .language:       OpenCL C
    .language_version:
      - 2
      - 0
    .max_flat_workgroup_size: 1024
    .name:           _Z4scanIiLi1024EEvlPT_PKS0_
    .private_segment_fixed_size: 0
    .sgpr_count:     40
    .sgpr_spill_count: 0
    .symbol:         _Z4scanIiLi1024EEvlPT_PKS0_.kd
    .uniform_work_group_size: 1
    .uses_dynamic_stack: false
    .vgpr_count:     30
    .vgpr_spill_count: 0
    .wavefront_size: 64
  - .args:
      - .offset:         0
        .size:           8
        .value_kind:     by_value
      - .actual_access:  write_only
        .address_space:  global
        .offset:         8
        .size:           8
        .value_kind:     global_buffer
      - .actual_access:  read_only
        .address_space:  global
        .offset:         16
        .size:           8
        .value_kind:     global_buffer
      - .offset:         24
        .size:           4
        .value_kind:     hidden_block_count_x
      - .offset:         28
        .size:           4
        .value_kind:     hidden_block_count_y
      - .offset:         32
        .size:           4
        .value_kind:     hidden_block_count_z
      - .offset:         36
        .size:           2
        .value_kind:     hidden_group_size_x
      - .offset:         38
        .size:           2
        .value_kind:     hidden_group_size_y
      - .offset:         40
        .size:           2
        .value_kind:     hidden_group_size_z
      - .offset:         42
        .size:           2
        .value_kind:     hidden_remainder_x
      - .offset:         44
        .size:           2
        .value_kind:     hidden_remainder_y
      - .offset:         46
        .size:           2
        .value_kind:     hidden_remainder_z
      - .offset:         64
        .size:           8
        .value_kind:     hidden_global_offset_x
      - .offset:         72
        .size:           8
        .value_kind:     hidden_global_offset_y
      - .offset:         80
        .size:           8
        .value_kind:     hidden_global_offset_z
      - .offset:         88
        .size:           2
        .value_kind:     hidden_grid_dims
    .group_segment_fixed_size: 8192
    .kernarg_segment_align: 8
    .kernarg_segment_size: 280
    .language:       OpenCL C
    .language_version:
      - 2
      - 0
    .max_flat_workgroup_size: 1024
    .name:           _Z9scan_bcaoIiLi1024EEvlPT_PKS0_
    .private_segment_fixed_size: 0
    .sgpr_count:     40
    .sgpr_spill_count: 0
    .symbol:         _Z9scan_bcaoIiLi1024EEvlPT_PKS0_.kd
    .uniform_work_group_size: 1
    .uses_dynamic_stack: false
    .vgpr_count:     28
    .vgpr_spill_count: 0
    .wavefront_size: 64
  - .args:
      - .offset:         0
        .size:           8
        .value_kind:     by_value
      - .actual_access:  write_only
        .address_space:  global
        .offset:         8
        .size:           8
        .value_kind:     global_buffer
      - .actual_access:  read_only
        .address_space:  global
        .offset:         16
        .size:           8
        .value_kind:     global_buffer
      - .offset:         24
        .size:           4
        .value_kind:     hidden_block_count_x
      - .offset:         28
        .size:           4
        .value_kind:     hidden_block_count_y
      - .offset:         32
        .size:           4
        .value_kind:     hidden_block_count_z
      - .offset:         36
        .size:           2
        .value_kind:     hidden_group_size_x
      - .offset:         38
        .size:           2
        .value_kind:     hidden_group_size_y
      - .offset:         40
        .size:           2
        .value_kind:     hidden_group_size_z
      - .offset:         42
        .size:           2
        .value_kind:     hidden_remainder_x
      - .offset:         44
        .size:           2
        .value_kind:     hidden_remainder_y
      - .offset:         46
        .size:           2
        .value_kind:     hidden_remainder_z
      - .offset:         64
        .size:           8
        .value_kind:     hidden_global_offset_x
      - .offset:         72
        .size:           8
        .value_kind:     hidden_global_offset_y
      - .offset:         80
        .size:           8
        .value_kind:     hidden_global_offset_z
      - .offset:         88
        .size:           2
        .value_kind:     hidden_grid_dims
    .group_segment_fixed_size: 8192
    .kernarg_segment_align: 8
    .kernarg_segment_size: 280
    .language:       OpenCL C
    .language_version:
      - 2
      - 0
    .max_flat_workgroup_size: 1024
    .name:           _Z4scanIlLi1024EEvlPT_PKS0_
    .private_segment_fixed_size: 0
    .sgpr_count:     40
    .sgpr_spill_count: 0
    .symbol:         _Z4scanIlLi1024EEvlPT_PKS0_.kd
    .uniform_work_group_size: 1
    .uses_dynamic_stack: false
    .vgpr_count:     30
    .vgpr_spill_count: 0
    .wavefront_size: 64
  - .args:
      - .offset:         0
        .size:           8
        .value_kind:     by_value
      - .actual_access:  write_only
        .address_space:  global
        .offset:         8
        .size:           8
        .value_kind:     global_buffer
      - .actual_access:  read_only
        .address_space:  global
        .offset:         16
        .size:           8
        .value_kind:     global_buffer
      - .offset:         24
        .size:           4
        .value_kind:     hidden_block_count_x
      - .offset:         28
        .size:           4
        .value_kind:     hidden_block_count_y
      - .offset:         32
        .size:           4
        .value_kind:     hidden_block_count_z
      - .offset:         36
        .size:           2
        .value_kind:     hidden_group_size_x
      - .offset:         38
        .size:           2
        .value_kind:     hidden_group_size_y
      - .offset:         40
        .size:           2
        .value_kind:     hidden_group_size_z
      - .offset:         42
        .size:           2
        .value_kind:     hidden_remainder_x
      - .offset:         44
        .size:           2
        .value_kind:     hidden_remainder_y
      - .offset:         46
        .size:           2
        .value_kind:     hidden_remainder_z
      - .offset:         64
        .size:           8
        .value_kind:     hidden_global_offset_x
      - .offset:         72
        .size:           8
        .value_kind:     hidden_global_offset_y
      - .offset:         80
        .size:           8
        .value_kind:     hidden_global_offset_z
      - .offset:         88
        .size:           2
        .value_kind:     hidden_grid_dims
    .group_segment_fixed_size: 16384
    .kernarg_segment_align: 8
    .kernarg_segment_size: 280
    .language:       OpenCL C
    .language_version:
      - 2
      - 0
    .max_flat_workgroup_size: 1024
    .name:           _Z9scan_bcaoIlLi1024EEvlPT_PKS0_
    .private_segment_fixed_size: 0
    .sgpr_count:     40
    .sgpr_spill_count: 0
    .symbol:         _Z9scan_bcaoIlLi1024EEvlPT_PKS0_.kd
    .uniform_work_group_size: 1
    .uses_dynamic_stack: false
    .vgpr_count:     33
    .vgpr_spill_count: 0
    .wavefront_size: 64
  - .args:
      - .offset:         0
        .size:           8
        .value_kind:     by_value
      - .actual_access:  write_only
        .address_space:  global
        .offset:         8
        .size:           8
        .value_kind:     global_buffer
      - .actual_access:  read_only
        .address_space:  global
        .offset:         16
        .size:           8
        .value_kind:     global_buffer
      - .offset:         24
        .size:           4
        .value_kind:     hidden_block_count_x
      - .offset:         28
        .size:           4
        .value_kind:     hidden_block_count_y
      - .offset:         32
        .size:           4
        .value_kind:     hidden_block_count_z
      - .offset:         36
        .size:           2
        .value_kind:     hidden_group_size_x
      - .offset:         38
        .size:           2
        .value_kind:     hidden_group_size_y
      - .offset:         40
        .size:           2
        .value_kind:     hidden_group_size_z
      - .offset:         42
        .size:           2
        .value_kind:     hidden_remainder_x
      - .offset:         44
        .size:           2
        .value_kind:     hidden_remainder_y
      - .offset:         46
        .size:           2
        .value_kind:     hidden_remainder_z
      - .offset:         64
        .size:           8
        .value_kind:     hidden_global_offset_x
      - .offset:         72
        .size:           8
        .value_kind:     hidden_global_offset_y
      - .offset:         80
        .size:           8
        .value_kind:     hidden_global_offset_z
      - .offset:         88
        .size:           2
        .value_kind:     hidden_grid_dims
    .group_segment_fixed_size: 2048
    .kernarg_segment_align: 8
    .kernarg_segment_size: 280
    .language:       OpenCL C
    .language_version:
      - 2
      - 0
    .max_flat_workgroup_size: 1024
    .name:           _Z4scanIcLi2048EEvlPT_PKS0_
    .private_segment_fixed_size: 0
    .sgpr_count:     40
    .sgpr_spill_count: 0
    .symbol:         _Z4scanIcLi2048EEvlPT_PKS0_.kd
    .uniform_work_group_size: 1
    .uses_dynamic_stack: false
    .vgpr_count:     26
    .vgpr_spill_count: 0
    .wavefront_size: 64
  - .args:
      - .offset:         0
        .size:           8
        .value_kind:     by_value
      - .actual_access:  write_only
        .address_space:  global
        .offset:         8
        .size:           8
        .value_kind:     global_buffer
      - .actual_access:  read_only
        .address_space:  global
        .offset:         16
        .size:           8
        .value_kind:     global_buffer
      - .offset:         24
        .size:           4
        .value_kind:     hidden_block_count_x
      - .offset:         28
        .size:           4
        .value_kind:     hidden_block_count_y
      - .offset:         32
        .size:           4
        .value_kind:     hidden_block_count_z
      - .offset:         36
        .size:           2
        .value_kind:     hidden_group_size_x
      - .offset:         38
        .size:           2
        .value_kind:     hidden_group_size_y
      - .offset:         40
        .size:           2
        .value_kind:     hidden_group_size_z
      - .offset:         42
        .size:           2
        .value_kind:     hidden_remainder_x
      - .offset:         44
        .size:           2
        .value_kind:     hidden_remainder_y
      - .offset:         46
        .size:           2
        .value_kind:     hidden_remainder_z
      - .offset:         64
        .size:           8
        .value_kind:     hidden_global_offset_x
      - .offset:         72
        .size:           8
        .value_kind:     hidden_global_offset_y
      - .offset:         80
        .size:           8
        .value_kind:     hidden_global_offset_z
      - .offset:         88
        .size:           2
        .value_kind:     hidden_grid_dims
    .group_segment_fixed_size: 4096
    .kernarg_segment_align: 8
    .kernarg_segment_size: 280
    .language:       OpenCL C
    .language_version:
      - 2
      - 0
    .max_flat_workgroup_size: 1024
    .name:           _Z9scan_bcaoIcLi2048EEvlPT_PKS0_
    .private_segment_fixed_size: 0
    .sgpr_count:     40
    .sgpr_spill_count: 0
    .symbol:         _Z9scan_bcaoIcLi2048EEvlPT_PKS0_.kd
    .uniform_work_group_size: 1
    .uses_dynamic_stack: false
    .vgpr_count:     34
    .vgpr_spill_count: 0
    .wavefront_size: 64
  - .args:
      - .offset:         0
        .size:           8
        .value_kind:     by_value
      - .actual_access:  write_only
        .address_space:  global
        .offset:         8
        .size:           8
        .value_kind:     global_buffer
      - .actual_access:  read_only
        .address_space:  global
        .offset:         16
        .size:           8
        .value_kind:     global_buffer
      - .offset:         24
        .size:           4
        .value_kind:     hidden_block_count_x
      - .offset:         28
        .size:           4
        .value_kind:     hidden_block_count_y
      - .offset:         32
        .size:           4
        .value_kind:     hidden_block_count_z
      - .offset:         36
        .size:           2
        .value_kind:     hidden_group_size_x
      - .offset:         38
        .size:           2
        .value_kind:     hidden_group_size_y
      - .offset:         40
        .size:           2
        .value_kind:     hidden_group_size_z
      - .offset:         42
        .size:           2
        .value_kind:     hidden_remainder_x
      - .offset:         44
        .size:           2
        .value_kind:     hidden_remainder_y
      - .offset:         46
        .size:           2
        .value_kind:     hidden_remainder_z
      - .offset:         64
        .size:           8
        .value_kind:     hidden_global_offset_x
      - .offset:         72
        .size:           8
        .value_kind:     hidden_global_offset_y
      - .offset:         80
        .size:           8
        .value_kind:     hidden_global_offset_z
      - .offset:         88
        .size:           2
        .value_kind:     hidden_grid_dims
    .group_segment_fixed_size: 4096
    .kernarg_segment_align: 8
    .kernarg_segment_size: 280
    .language:       OpenCL C
    .language_version:
      - 2
      - 0
    .max_flat_workgroup_size: 1024
    .name:           _Z4scanIsLi2048EEvlPT_PKS0_
    .private_segment_fixed_size: 0
    .sgpr_count:     36
    .sgpr_spill_count: 0
    .symbol:         _Z4scanIsLi2048EEvlPT_PKS0_.kd
    .uniform_work_group_size: 1
    .uses_dynamic_stack: false
    .vgpr_count:     30
    .vgpr_spill_count: 0
    .wavefront_size: 64
  - .args:
      - .offset:         0
        .size:           8
        .value_kind:     by_value
      - .actual_access:  write_only
        .address_space:  global
        .offset:         8
        .size:           8
        .value_kind:     global_buffer
      - .actual_access:  read_only
        .address_space:  global
        .offset:         16
        .size:           8
        .value_kind:     global_buffer
      - .offset:         24
        .size:           4
        .value_kind:     hidden_block_count_x
      - .offset:         28
        .size:           4
        .value_kind:     hidden_block_count_y
      - .offset:         32
        .size:           4
        .value_kind:     hidden_block_count_z
      - .offset:         36
        .size:           2
        .value_kind:     hidden_group_size_x
      - .offset:         38
        .size:           2
        .value_kind:     hidden_group_size_y
      - .offset:         40
        .size:           2
        .value_kind:     hidden_group_size_z
      - .offset:         42
        .size:           2
        .value_kind:     hidden_remainder_x
      - .offset:         44
        .size:           2
        .value_kind:     hidden_remainder_y
      - .offset:         46
        .size:           2
        .value_kind:     hidden_remainder_z
      - .offset:         64
        .size:           8
        .value_kind:     hidden_global_offset_x
      - .offset:         72
        .size:           8
        .value_kind:     hidden_global_offset_y
      - .offset:         80
        .size:           8
        .value_kind:     hidden_global_offset_z
      - .offset:         88
        .size:           2
        .value_kind:     hidden_grid_dims
    .group_segment_fixed_size: 8192
    .kernarg_segment_align: 8
    .kernarg_segment_size: 280
    .language:       OpenCL C
    .language_version:
      - 2
      - 0
    .max_flat_workgroup_size: 1024
    .name:           _Z9scan_bcaoIsLi2048EEvlPT_PKS0_
    .private_segment_fixed_size: 0
    .sgpr_count:     40
    .sgpr_spill_count: 0
    .symbol:         _Z9scan_bcaoIsLi2048EEvlPT_PKS0_.kd
    .uniform_work_group_size: 1
    .uses_dynamic_stack: false
    .vgpr_count:     29
    .vgpr_spill_count: 0
    .wavefront_size: 64
  - .args:
      - .offset:         0
        .size:           8
        .value_kind:     by_value
      - .actual_access:  write_only
        .address_space:  global
        .offset:         8
        .size:           8
        .value_kind:     global_buffer
      - .actual_access:  read_only
        .address_space:  global
        .offset:         16
        .size:           8
        .value_kind:     global_buffer
      - .offset:         24
        .size:           4
        .value_kind:     hidden_block_count_x
      - .offset:         28
        .size:           4
        .value_kind:     hidden_block_count_y
      - .offset:         32
        .size:           4
        .value_kind:     hidden_block_count_z
      - .offset:         36
        .size:           2
        .value_kind:     hidden_group_size_x
      - .offset:         38
        .size:           2
        .value_kind:     hidden_group_size_y
      - .offset:         40
        .size:           2
        .value_kind:     hidden_group_size_z
      - .offset:         42
        .size:           2
        .value_kind:     hidden_remainder_x
      - .offset:         44
        .size:           2
        .value_kind:     hidden_remainder_y
      - .offset:         46
        .size:           2
        .value_kind:     hidden_remainder_z
      - .offset:         64
        .size:           8
        .value_kind:     hidden_global_offset_x
      - .offset:         72
        .size:           8
        .value_kind:     hidden_global_offset_y
      - .offset:         80
        .size:           8
        .value_kind:     hidden_global_offset_z
      - .offset:         88
        .size:           2
        .value_kind:     hidden_grid_dims
    .group_segment_fixed_size: 8192
    .kernarg_segment_align: 8
    .kernarg_segment_size: 280
    .language:       OpenCL C
    .language_version:
      - 2
      - 0
    .max_flat_workgroup_size: 1024
    .name:           _Z4scanIiLi2048EEvlPT_PKS0_
    .private_segment_fixed_size: 0
    .sgpr_count:     36
    .sgpr_spill_count: 0
    .symbol:         _Z4scanIiLi2048EEvlPT_PKS0_.kd
    .uniform_work_group_size: 1
    .uses_dynamic_stack: false
    .vgpr_count:     33
    .vgpr_spill_count: 0
    .wavefront_size: 64
  - .args:
      - .offset:         0
        .size:           8
        .value_kind:     by_value
      - .actual_access:  write_only
        .address_space:  global
        .offset:         8
        .size:           8
        .value_kind:     global_buffer
      - .actual_access:  read_only
        .address_space:  global
        .offset:         16
        .size:           8
        .value_kind:     global_buffer
      - .offset:         24
        .size:           4
        .value_kind:     hidden_block_count_x
      - .offset:         28
        .size:           4
        .value_kind:     hidden_block_count_y
      - .offset:         32
        .size:           4
        .value_kind:     hidden_block_count_z
      - .offset:         36
        .size:           2
        .value_kind:     hidden_group_size_x
      - .offset:         38
        .size:           2
        .value_kind:     hidden_group_size_y
      - .offset:         40
        .size:           2
        .value_kind:     hidden_group_size_z
      - .offset:         42
        .size:           2
        .value_kind:     hidden_remainder_x
      - .offset:         44
        .size:           2
        .value_kind:     hidden_remainder_y
      - .offset:         46
        .size:           2
        .value_kind:     hidden_remainder_z
      - .offset:         64
        .size:           8
        .value_kind:     hidden_global_offset_x
      - .offset:         72
        .size:           8
        .value_kind:     hidden_global_offset_y
      - .offset:         80
        .size:           8
        .value_kind:     hidden_global_offset_z
      - .offset:         88
        .size:           2
        .value_kind:     hidden_grid_dims
    .group_segment_fixed_size: 16384
    .kernarg_segment_align: 8
    .kernarg_segment_size: 280
    .language:       OpenCL C
    .language_version:
      - 2
      - 0
    .max_flat_workgroup_size: 1024
    .name:           _Z9scan_bcaoIiLi2048EEvlPT_PKS0_
    .private_segment_fixed_size: 0
    .sgpr_count:     40
    .sgpr_spill_count: 0
    .symbol:         _Z9scan_bcaoIiLi2048EEvlPT_PKS0_.kd
    .uniform_work_group_size: 1
    .uses_dynamic_stack: false
    .vgpr_count:     31
    .vgpr_spill_count: 0
    .wavefront_size: 64
  - .args:
      - .offset:         0
        .size:           8
        .value_kind:     by_value
      - .actual_access:  write_only
        .address_space:  global
        .offset:         8
        .size:           8
        .value_kind:     global_buffer
      - .actual_access:  read_only
        .address_space:  global
        .offset:         16
        .size:           8
        .value_kind:     global_buffer
      - .offset:         24
        .size:           4
        .value_kind:     hidden_block_count_x
      - .offset:         28
        .size:           4
        .value_kind:     hidden_block_count_y
      - .offset:         32
        .size:           4
        .value_kind:     hidden_block_count_z
      - .offset:         36
        .size:           2
        .value_kind:     hidden_group_size_x
      - .offset:         38
        .size:           2
        .value_kind:     hidden_group_size_y
      - .offset:         40
        .size:           2
        .value_kind:     hidden_group_size_z
      - .offset:         42
        .size:           2
        .value_kind:     hidden_remainder_x
      - .offset:         44
        .size:           2
        .value_kind:     hidden_remainder_y
      - .offset:         46
        .size:           2
        .value_kind:     hidden_remainder_z
      - .offset:         64
        .size:           8
        .value_kind:     hidden_global_offset_x
      - .offset:         72
        .size:           8
        .value_kind:     hidden_global_offset_y
      - .offset:         80
        .size:           8
        .value_kind:     hidden_global_offset_z
      - .offset:         88
        .size:           2
        .value_kind:     hidden_grid_dims
    .group_segment_fixed_size: 16384
    .kernarg_segment_align: 8
    .kernarg_segment_size: 280
    .language:       OpenCL C
    .language_version:
      - 2
      - 0
    .max_flat_workgroup_size: 1024
    .name:           _Z4scanIlLi2048EEvlPT_PKS0_
    .private_segment_fixed_size: 0
    .sgpr_count:     40
    .sgpr_spill_count: 0
    .symbol:         _Z4scanIlLi2048EEvlPT_PKS0_.kd
    .uniform_work_group_size: 1
    .uses_dynamic_stack: false
    .vgpr_count:     30
    .vgpr_spill_count: 0
    .wavefront_size: 64
  - .args:
      - .offset:         0
        .size:           8
        .value_kind:     by_value
      - .actual_access:  write_only
        .address_space:  global
        .offset:         8
        .size:           8
        .value_kind:     global_buffer
      - .actual_access:  read_only
        .address_space:  global
        .offset:         16
        .size:           8
        .value_kind:     global_buffer
      - .offset:         24
        .size:           4
        .value_kind:     hidden_block_count_x
      - .offset:         28
        .size:           4
        .value_kind:     hidden_block_count_y
      - .offset:         32
        .size:           4
        .value_kind:     hidden_block_count_z
      - .offset:         36
        .size:           2
        .value_kind:     hidden_group_size_x
      - .offset:         38
        .size:           2
        .value_kind:     hidden_group_size_y
      - .offset:         40
        .size:           2
        .value_kind:     hidden_group_size_z
      - .offset:         42
        .size:           2
        .value_kind:     hidden_remainder_x
      - .offset:         44
        .size:           2
        .value_kind:     hidden_remainder_y
      - .offset:         46
        .size:           2
        .value_kind:     hidden_remainder_z
      - .offset:         64
        .size:           8
        .value_kind:     hidden_global_offset_x
      - .offset:         72
        .size:           8
        .value_kind:     hidden_global_offset_y
      - .offset:         80
        .size:           8
        .value_kind:     hidden_global_offset_z
      - .offset:         88
        .size:           2
        .value_kind:     hidden_grid_dims
    .group_segment_fixed_size: 32768
    .kernarg_segment_align: 8
    .kernarg_segment_size: 280
    .language:       OpenCL C
    .language_version:
      - 2
      - 0
    .max_flat_workgroup_size: 1024
    .name:           _Z9scan_bcaoIlLi2048EEvlPT_PKS0_
    .private_segment_fixed_size: 0
    .sgpr_count:     40
    .sgpr_spill_count: 0
    .symbol:         _Z9scan_bcaoIlLi2048EEvlPT_PKS0_.kd
    .uniform_work_group_size: 1
    .uses_dynamic_stack: false
    .vgpr_count:     32
    .vgpr_spill_count: 0
    .wavefront_size: 64
amdhsa.target:   amdgcn-amd-amdhsa--gfx906
amdhsa.version:
  - 1
  - 2
...

	.end_amdgpu_metadata
